;; amdgpu-corpus repo=ROCm/rocFFT kind=compiled arch=gfx1201 opt=O3
	.text
	.amdgcn_target "amdgcn-amd-amdhsa--gfx1201"
	.amdhsa_code_object_version 6
	.protected	fft_rtc_back_len1690_factors_13_10_13_wgs_169_tpt_169_sp_op_CI_CI_unitstride_sbrr_C2R_dirReg ; -- Begin function fft_rtc_back_len1690_factors_13_10_13_wgs_169_tpt_169_sp_op_CI_CI_unitstride_sbrr_C2R_dirReg
	.globl	fft_rtc_back_len1690_factors_13_10_13_wgs_169_tpt_169_sp_op_CI_CI_unitstride_sbrr_C2R_dirReg
	.p2align	8
	.type	fft_rtc_back_len1690_factors_13_10_13_wgs_169_tpt_169_sp_op_CI_CI_unitstride_sbrr_C2R_dirReg,@function
fft_rtc_back_len1690_factors_13_10_13_wgs_169_tpt_169_sp_op_CI_CI_unitstride_sbrr_C2R_dirReg: ; @fft_rtc_back_len1690_factors_13_10_13_wgs_169_tpt_169_sp_op_CI_CI_unitstride_sbrr_C2R_dirReg
; %bb.0:
	s_clause 0x2
	s_load_b128 s[8:11], s[0:1], 0x0
	s_load_b128 s[4:7], s[0:1], 0x58
	;; [unrolled: 1-line block ×3, first 2 shown]
	v_mul_u32_u24_e32 v1, 0x184, v0
	v_mov_b32_e32 v3, 0
	s_delay_alu instid0(VALU_DEP_2) | instskip(NEXT) | instid1(VALU_DEP_1)
	v_lshrrev_b32_e32 v1, 16, v1
	v_add_nc_u32_e32 v5, ttmp9, v1
	v_mov_b32_e32 v1, 0
	v_mov_b32_e32 v2, 0
	;; [unrolled: 1-line block ×3, first 2 shown]
	s_wait_kmcnt 0x0
	v_cmp_lt_u64_e64 s2, s[10:11], 2
	s_delay_alu instid0(VALU_DEP_1)
	s_and_b32 vcc_lo, exec_lo, s2
	s_cbranch_vccnz .LBB0_8
; %bb.1:
	s_load_b64 s[2:3], s[0:1], 0x10
	v_mov_b32_e32 v1, 0
	v_mov_b32_e32 v2, 0
	s_add_nc_u64 s[16:17], s[14:15], 8
	s_add_nc_u64 s[18:19], s[12:13], 8
	s_mov_b64 s[20:21], 1
	s_delay_alu instid0(VALU_DEP_1)
	v_dual_mov_b32 v29, v2 :: v_dual_mov_b32 v28, v1
	s_wait_kmcnt 0x0
	s_add_nc_u64 s[22:23], s[2:3], 8
	s_mov_b32 s3, 0
.LBB0_2:                                ; =>This Inner Loop Header: Depth=1
	s_load_b64 s[24:25], s[22:23], 0x0
                                        ; implicit-def: $vgpr32_vgpr33
	s_mov_b32 s2, exec_lo
	s_wait_kmcnt 0x0
	v_or_b32_e32 v4, s25, v6
	s_delay_alu instid0(VALU_DEP_1)
	v_cmpx_ne_u64_e32 0, v[3:4]
	s_wait_alu 0xfffe
	s_xor_b32 s26, exec_lo, s2
	s_cbranch_execz .LBB0_4
; %bb.3:                                ;   in Loop: Header=BB0_2 Depth=1
	s_cvt_f32_u32 s2, s24
	s_cvt_f32_u32 s27, s25
	s_sub_nc_u64 s[30:31], 0, s[24:25]
	s_wait_alu 0xfffe
	s_delay_alu instid0(SALU_CYCLE_1) | instskip(SKIP_1) | instid1(SALU_CYCLE_2)
	s_fmamk_f32 s2, s27, 0x4f800000, s2
	s_wait_alu 0xfffe
	v_s_rcp_f32 s2, s2
	s_delay_alu instid0(TRANS32_DEP_1) | instskip(SKIP_1) | instid1(SALU_CYCLE_2)
	s_mul_f32 s2, s2, 0x5f7ffffc
	s_wait_alu 0xfffe
	s_mul_f32 s27, s2, 0x2f800000
	s_wait_alu 0xfffe
	s_delay_alu instid0(SALU_CYCLE_2) | instskip(SKIP_1) | instid1(SALU_CYCLE_2)
	s_trunc_f32 s27, s27
	s_wait_alu 0xfffe
	s_fmamk_f32 s2, s27, 0xcf800000, s2
	s_cvt_u32_f32 s29, s27
	s_wait_alu 0xfffe
	s_delay_alu instid0(SALU_CYCLE_1) | instskip(SKIP_1) | instid1(SALU_CYCLE_2)
	s_cvt_u32_f32 s28, s2
	s_wait_alu 0xfffe
	s_mul_u64 s[34:35], s[30:31], s[28:29]
	s_wait_alu 0xfffe
	s_mul_hi_u32 s37, s28, s35
	s_mul_i32 s36, s28, s35
	s_mul_hi_u32 s2, s28, s34
	s_mul_i32 s33, s29, s34
	s_wait_alu 0xfffe
	s_add_nc_u64 s[36:37], s[2:3], s[36:37]
	s_mul_hi_u32 s27, s29, s34
	s_mul_hi_u32 s38, s29, s35
	s_add_co_u32 s2, s36, s33
	s_wait_alu 0xfffe
	s_add_co_ci_u32 s2, s37, s27
	s_mul_i32 s34, s29, s35
	s_add_co_ci_u32 s35, s38, 0
	s_wait_alu 0xfffe
	s_add_nc_u64 s[34:35], s[2:3], s[34:35]
	s_wait_alu 0xfffe
	v_add_co_u32 v4, s2, s28, s34
	s_delay_alu instid0(VALU_DEP_1) | instskip(SKIP_1) | instid1(VALU_DEP_1)
	s_cmp_lg_u32 s2, 0
	s_add_co_ci_u32 s29, s29, s35
	v_readfirstlane_b32 s28, v4
	s_wait_alu 0xfffe
	s_delay_alu instid0(VALU_DEP_1)
	s_mul_u64 s[30:31], s[30:31], s[28:29]
	s_wait_alu 0xfffe
	s_mul_hi_u32 s35, s28, s31
	s_mul_i32 s34, s28, s31
	s_mul_hi_u32 s2, s28, s30
	s_mul_i32 s33, s29, s30
	s_wait_alu 0xfffe
	s_add_nc_u64 s[34:35], s[2:3], s[34:35]
	s_mul_hi_u32 s27, s29, s30
	s_mul_hi_u32 s28, s29, s31
	s_wait_alu 0xfffe
	s_add_co_u32 s2, s34, s33
	s_add_co_ci_u32 s2, s35, s27
	s_mul_i32 s30, s29, s31
	s_add_co_ci_u32 s31, s28, 0
	s_wait_alu 0xfffe
	s_add_nc_u64 s[30:31], s[2:3], s[30:31]
	s_wait_alu 0xfffe
	v_add_co_u32 v4, s2, v4, s30
	s_delay_alu instid0(VALU_DEP_1) | instskip(SKIP_1) | instid1(VALU_DEP_1)
	s_cmp_lg_u32 s2, 0
	s_add_co_ci_u32 s2, s29, s31
	v_mul_hi_u32 v13, v5, v4
	s_wait_alu 0xfffe
	v_mad_co_u64_u32 v[7:8], null, v5, s2, 0
	v_mad_co_u64_u32 v[9:10], null, v6, v4, 0
	;; [unrolled: 1-line block ×3, first 2 shown]
	s_delay_alu instid0(VALU_DEP_3) | instskip(SKIP_1) | instid1(VALU_DEP_4)
	v_add_co_u32 v4, vcc_lo, v13, v7
	s_wait_alu 0xfffd
	v_add_co_ci_u32_e32 v7, vcc_lo, 0, v8, vcc_lo
	s_delay_alu instid0(VALU_DEP_2) | instskip(SKIP_1) | instid1(VALU_DEP_2)
	v_add_co_u32 v4, vcc_lo, v4, v9
	s_wait_alu 0xfffd
	v_add_co_ci_u32_e32 v4, vcc_lo, v7, v10, vcc_lo
	s_wait_alu 0xfffd
	v_add_co_ci_u32_e32 v7, vcc_lo, 0, v12, vcc_lo
	s_delay_alu instid0(VALU_DEP_2) | instskip(SKIP_1) | instid1(VALU_DEP_2)
	v_add_co_u32 v4, vcc_lo, v4, v11
	s_wait_alu 0xfffd
	v_add_co_ci_u32_e32 v9, vcc_lo, 0, v7, vcc_lo
	s_delay_alu instid0(VALU_DEP_2) | instskip(SKIP_1) | instid1(VALU_DEP_3)
	v_mul_lo_u32 v10, s25, v4
	v_mad_co_u64_u32 v[7:8], null, s24, v4, 0
	v_mul_lo_u32 v11, s24, v9
	s_delay_alu instid0(VALU_DEP_2) | instskip(NEXT) | instid1(VALU_DEP_2)
	v_sub_co_u32 v7, vcc_lo, v5, v7
	v_add3_u32 v8, v8, v11, v10
	s_delay_alu instid0(VALU_DEP_1) | instskip(SKIP_1) | instid1(VALU_DEP_1)
	v_sub_nc_u32_e32 v10, v6, v8
	s_wait_alu 0xfffd
	v_subrev_co_ci_u32_e64 v10, s2, s25, v10, vcc_lo
	v_add_co_u32 v11, s2, v4, 2
	s_wait_alu 0xf1ff
	v_add_co_ci_u32_e64 v12, s2, 0, v9, s2
	v_sub_co_u32 v13, s2, v7, s24
	v_sub_co_ci_u32_e32 v8, vcc_lo, v6, v8, vcc_lo
	s_wait_alu 0xf1ff
	v_subrev_co_ci_u32_e64 v10, s2, 0, v10, s2
	s_delay_alu instid0(VALU_DEP_3) | instskip(NEXT) | instid1(VALU_DEP_3)
	v_cmp_le_u32_e32 vcc_lo, s24, v13
	v_cmp_eq_u32_e64 s2, s25, v8
	s_wait_alu 0xfffd
	v_cndmask_b32_e64 v13, 0, -1, vcc_lo
	v_cmp_le_u32_e32 vcc_lo, s25, v10
	s_wait_alu 0xfffd
	v_cndmask_b32_e64 v14, 0, -1, vcc_lo
	v_cmp_le_u32_e32 vcc_lo, s24, v7
	;; [unrolled: 3-line block ×3, first 2 shown]
	s_wait_alu 0xfffd
	v_cndmask_b32_e64 v15, 0, -1, vcc_lo
	v_cmp_eq_u32_e32 vcc_lo, s25, v10
	s_wait_alu 0xf1ff
	s_delay_alu instid0(VALU_DEP_2)
	v_cndmask_b32_e64 v7, v15, v7, s2
	s_wait_alu 0xfffd
	v_cndmask_b32_e32 v10, v14, v13, vcc_lo
	v_add_co_u32 v13, vcc_lo, v4, 1
	s_wait_alu 0xfffd
	v_add_co_ci_u32_e32 v14, vcc_lo, 0, v9, vcc_lo
	s_delay_alu instid0(VALU_DEP_3) | instskip(SKIP_1) | instid1(VALU_DEP_2)
	v_cmp_ne_u32_e32 vcc_lo, 0, v10
	s_wait_alu 0xfffd
	v_cndmask_b32_e32 v8, v14, v12, vcc_lo
	v_cndmask_b32_e32 v10, v13, v11, vcc_lo
	v_cmp_ne_u32_e32 vcc_lo, 0, v7
	s_wait_alu 0xfffd
	s_delay_alu instid0(VALU_DEP_2)
	v_dual_cndmask_b32 v33, v9, v8 :: v_dual_cndmask_b32 v32, v4, v10
.LBB0_4:                                ;   in Loop: Header=BB0_2 Depth=1
	s_wait_alu 0xfffe
	s_and_not1_saveexec_b32 s2, s26
	s_cbranch_execz .LBB0_6
; %bb.5:                                ;   in Loop: Header=BB0_2 Depth=1
	v_cvt_f32_u32_e32 v4, s24
	s_sub_co_i32 s26, 0, s24
	v_mov_b32_e32 v33, v3
	s_delay_alu instid0(VALU_DEP_2) | instskip(NEXT) | instid1(TRANS32_DEP_1)
	v_rcp_iflag_f32_e32 v4, v4
	v_mul_f32_e32 v4, 0x4f7ffffe, v4
	s_delay_alu instid0(VALU_DEP_1) | instskip(SKIP_1) | instid1(VALU_DEP_1)
	v_cvt_u32_f32_e32 v4, v4
	s_wait_alu 0xfffe
	v_mul_lo_u32 v7, s26, v4
	s_delay_alu instid0(VALU_DEP_1) | instskip(NEXT) | instid1(VALU_DEP_1)
	v_mul_hi_u32 v7, v4, v7
	v_add_nc_u32_e32 v4, v4, v7
	s_delay_alu instid0(VALU_DEP_1) | instskip(NEXT) | instid1(VALU_DEP_1)
	v_mul_hi_u32 v4, v5, v4
	v_mul_lo_u32 v7, v4, s24
	v_add_nc_u32_e32 v8, 1, v4
	s_delay_alu instid0(VALU_DEP_2) | instskip(NEXT) | instid1(VALU_DEP_1)
	v_sub_nc_u32_e32 v7, v5, v7
	v_subrev_nc_u32_e32 v9, s24, v7
	v_cmp_le_u32_e32 vcc_lo, s24, v7
	s_wait_alu 0xfffd
	s_delay_alu instid0(VALU_DEP_2) | instskip(NEXT) | instid1(VALU_DEP_1)
	v_dual_cndmask_b32 v7, v7, v9 :: v_dual_cndmask_b32 v4, v4, v8
	v_cmp_le_u32_e32 vcc_lo, s24, v7
	s_delay_alu instid0(VALU_DEP_2) | instskip(SKIP_1) | instid1(VALU_DEP_1)
	v_add_nc_u32_e32 v8, 1, v4
	s_wait_alu 0xfffd
	v_cndmask_b32_e32 v32, v4, v8, vcc_lo
.LBB0_6:                                ;   in Loop: Header=BB0_2 Depth=1
	s_wait_alu 0xfffe
	s_or_b32 exec_lo, exec_lo, s2
	v_mul_lo_u32 v4, v33, s24
	s_delay_alu instid0(VALU_DEP_2)
	v_mul_lo_u32 v9, v32, s25
	s_load_b64 s[26:27], s[18:19], 0x0
	v_mad_co_u64_u32 v[7:8], null, v32, s24, 0
	s_load_b64 s[24:25], s[16:17], 0x0
	s_add_nc_u64 s[20:21], s[20:21], 1
	s_add_nc_u64 s[16:17], s[16:17], 8
	s_wait_alu 0xfffe
	v_cmp_ge_u64_e64 s2, s[20:21], s[10:11]
	s_add_nc_u64 s[18:19], s[18:19], 8
	s_add_nc_u64 s[22:23], s[22:23], 8
	v_add3_u32 v4, v8, v9, v4
	v_sub_co_u32 v5, vcc_lo, v5, v7
	s_wait_alu 0xfffd
	s_delay_alu instid0(VALU_DEP_2) | instskip(SKIP_2) | instid1(VALU_DEP_1)
	v_sub_co_ci_u32_e32 v4, vcc_lo, v6, v4, vcc_lo
	s_and_b32 vcc_lo, exec_lo, s2
	s_wait_kmcnt 0x0
	v_mul_lo_u32 v6, s26, v4
	v_mul_lo_u32 v7, s27, v5
	v_mad_co_u64_u32 v[1:2], null, s26, v5, v[1:2]
	v_mul_lo_u32 v4, s24, v4
	v_mul_lo_u32 v8, s25, v5
	v_mad_co_u64_u32 v[28:29], null, s24, v5, v[28:29]
	s_delay_alu instid0(VALU_DEP_4) | instskip(NEXT) | instid1(VALU_DEP_2)
	v_add3_u32 v2, v7, v2, v6
	v_add3_u32 v29, v8, v29, v4
	s_wait_alu 0xfffe
	s_cbranch_vccnz .LBB0_9
; %bb.7:                                ;   in Loop: Header=BB0_2 Depth=1
	v_dual_mov_b32 v5, v32 :: v_dual_mov_b32 v6, v33
	s_branch .LBB0_2
.LBB0_8:
	v_dual_mov_b32 v29, v2 :: v_dual_mov_b32 v28, v1
	v_dual_mov_b32 v33, v6 :: v_dual_mov_b32 v32, v5
.LBB0_9:
	s_load_b64 s[0:1], s[0:1], 0x28
	v_mul_hi_u32 v3, 0x183c978, v0
	s_lshl_b64 s[10:11], s[10:11], 3
                                        ; implicit-def: $vgpr30
	s_wait_alu 0xfffe
	s_add_nc_u64 s[2:3], s[14:15], s[10:11]
	s_wait_kmcnt 0x0
	v_cmp_gt_u64_e32 vcc_lo, s[0:1], v[32:33]
	v_cmp_le_u64_e64 s0, s[0:1], v[32:33]
	s_delay_alu instid0(VALU_DEP_1)
	s_and_saveexec_b32 s1, s0
	s_wait_alu 0xfffe
	s_xor_b32 s0, exec_lo, s1
; %bb.10:
	v_mul_u32_u24_e32 v1, 0xa9, v3
                                        ; implicit-def: $vgpr3
	s_delay_alu instid0(VALU_DEP_1)
	v_sub_nc_u32_e32 v30, v0, v1
                                        ; implicit-def: $vgpr0
                                        ; implicit-def: $vgpr1_vgpr2
; %bb.11:
	s_wait_alu 0xfffe
	s_or_saveexec_b32 s1, s0
	s_load_b64 s[2:3], s[2:3], 0x0
	s_xor_b32 exec_lo, exec_lo, s1
	s_cbranch_execz .LBB0_15
; %bb.12:
	s_add_nc_u64 s[10:11], s[12:13], s[10:11]
	v_lshlrev_b64_e32 v[1:2], 3, v[1:2]
	s_load_b64 s[10:11], s[10:11], 0x0
	s_wait_kmcnt 0x0
	v_mul_lo_u32 v6, s11, v32
	v_mul_lo_u32 v7, s10, v33
	v_mad_co_u64_u32 v[4:5], null, s10, v32, 0
	s_delay_alu instid0(VALU_DEP_1) | instskip(SKIP_1) | instid1(VALU_DEP_2)
	v_add3_u32 v5, v5, v7, v6
	v_mul_u32_u24_e32 v6, 0xa9, v3
	v_lshlrev_b64_e32 v[3:4], 3, v[4:5]
	s_delay_alu instid0(VALU_DEP_2) | instskip(NEXT) | instid1(VALU_DEP_1)
	v_sub_nc_u32_e32 v30, v0, v6
	v_lshlrev_b32_e32 v22, 3, v30
	s_delay_alu instid0(VALU_DEP_3) | instskip(SKIP_1) | instid1(VALU_DEP_4)
	v_add_co_u32 v0, s0, s4, v3
	s_wait_alu 0xf1ff
	v_add_co_ci_u32_e64 v3, s0, s5, v4, s0
	s_mov_b32 s4, exec_lo
	s_delay_alu instid0(VALU_DEP_2) | instskip(SKIP_1) | instid1(VALU_DEP_2)
	v_add_co_u32 v0, s0, v0, v1
	s_wait_alu 0xf1ff
	v_add_co_ci_u32_e64 v1, s0, v3, v2, s0
	s_delay_alu instid0(VALU_DEP_2) | instskip(SKIP_1) | instid1(VALU_DEP_2)
	v_add_co_u32 v2, s0, v0, v22
	s_wait_alu 0xf1ff
	v_add_co_ci_u32_e64 v3, s0, 0, v1, s0
	s_clause 0x9
	global_load_b64 v[4:5], v[2:3], off
	global_load_b64 v[6:7], v[2:3], off offset:1352
	global_load_b64 v[8:9], v[2:3], off offset:2704
	;; [unrolled: 1-line block ×9, first 2 shown]
	v_add_nc_u32_e32 v22, 0, v22
	s_delay_alu instid0(VALU_DEP_1)
	v_add_nc_u32_e32 v23, 0x800, v22
	v_add_nc_u32_e32 v24, 0x1400, v22
	;; [unrolled: 1-line block ×4, first 2 shown]
	s_wait_loadcnt 0x8
	ds_store_2addr_b64 v22, v[4:5], v[6:7] offset1:169
	s_wait_loadcnt 0x6
	ds_store_2addr_b64 v23, v[8:9], v[10:11] offset0:82 offset1:251
	s_wait_loadcnt 0x4
	ds_store_2addr_b64 v24, v[12:13], v[14:15] offset0:36 offset1:205
	;; [unrolled: 2-line block ×4, first 2 shown]
	v_cmpx_eq_u32_e32 0xa8, v30
	s_cbranch_execz .LBB0_14
; %bb.13:
	global_load_b64 v[0:1], v[0:1], off offset:13520
	v_mov_b32_e32 v2, 0
	v_mov_b32_e32 v30, 0xa8
	s_wait_loadcnt 0x0
	ds_store_b64 v2, v[0:1] offset:13520
.LBB0_14:
	s_wait_alu 0xfffe
	s_or_b32 exec_lo, exec_lo, s4
.LBB0_15:
	s_delay_alu instid0(SALU_CYCLE_1)
	s_or_b32 exec_lo, exec_lo, s1
	v_lshlrev_b32_e32 v0, 3, v30
	global_wb scope:SCOPE_SE
	s_wait_dscnt 0x0
	s_wait_kmcnt 0x0
	s_barrier_signal -1
	s_barrier_wait -1
	global_inv scope:SCOPE_SE
	v_add_nc_u32_e32 v38, 0, v0
	v_sub_nc_u32_e32 v4, 0, v0
	s_mov_b32 s1, exec_lo
                                        ; implicit-def: $vgpr2_vgpr3
	ds_load_b32 v5, v38
	ds_load_b32 v6, v4 offset:13520
	s_wait_dscnt 0x0
	v_dual_sub_f32 v1, v5, v6 :: v_dual_add_f32 v0, v6, v5
	v_cmpx_ne_u32_e32 0, v30
	s_wait_alu 0xfffe
	s_xor_b32 s1, exec_lo, s1
	s_cbranch_execz .LBB0_17
; %bb.16:
	v_dual_mov_b32 v31, 0 :: v_dual_sub_f32 v8, v5, v6
	s_delay_alu instid0(VALU_DEP_1) | instskip(NEXT) | instid1(VALU_DEP_1)
	v_lshlrev_b64_e32 v[0:1], 3, v[30:31]
	v_add_co_u32 v0, s0, s8, v0
	s_wait_alu 0xf1ff
	s_delay_alu instid0(VALU_DEP_2)
	v_add_co_ci_u32_e64 v1, s0, s9, v1, s0
	global_load_b64 v[2:3], v[0:1], off offset:13416
	ds_load_b32 v0, v4 offset:13524
	ds_load_b32 v1, v38 offset:4
	v_add_f32_e32 v7, v6, v5
	s_wait_dscnt 0x0
	v_dual_add_f32 v9, v0, v1 :: v_dual_sub_f32 v0, v1, v0
	s_wait_loadcnt 0x0
	s_delay_alu instid0(VALU_DEP_2) | instskip(NEXT) | instid1(VALU_DEP_2)
	v_fma_f32 v5, -v8, v3, v7
	v_fma_f32 v6, v9, v3, -v0
	v_fma_f32 v10, v8, v3, v7
	v_fma_f32 v1, v9, v3, v0
	s_delay_alu instid0(VALU_DEP_3) | instskip(NEXT) | instid1(VALU_DEP_3)
	v_dual_fmac_f32 v5, v2, v9 :: v_dual_fmac_f32 v6, v8, v2
	v_fma_f32 v0, -v2, v9, v10
	s_delay_alu instid0(VALU_DEP_3)
	v_dual_fmac_f32 v1, v8, v2 :: v_dual_mov_b32 v2, v30
	v_mov_b32_e32 v3, v31
	ds_store_b64 v4, v[5:6] offset:13520
.LBB0_17:
	s_wait_alu 0xfffe
	s_and_not1_saveexec_b32 s0, s1
	s_cbranch_execz .LBB0_19
; %bb.18:
	v_mov_b32_e32 v7, 0
	ds_load_b64 v[2:3], v7 offset:6760
	s_wait_dscnt 0x0
	v_dual_mul_f32 v6, -2.0, v3 :: v_dual_add_f32 v5, v2, v2
	v_mov_b32_e32 v2, 0
	v_mov_b32_e32 v3, 0
	ds_store_b64 v7, v[5:6] offset:6760
.LBB0_19:
	s_wait_alu 0xfffe
	s_or_b32 exec_lo, exec_lo, s0
	v_lshlrev_b64_e32 v[2:3], 3, v[2:3]
	s_add_nc_u64 s[0:1], s[8:9], 0x3468
	v_add_nc_u32_e32 v39, 0x800, v38
	v_add_nc_u32_e32 v31, 0x2800, v38
	s_wait_alu 0xfffe
	s_delay_alu instid0(VALU_DEP_3)
	v_add_co_u32 v2, s0, s0, v2
	s_wait_alu 0xf1ff
	v_add_co_ci_u32_e64 v3, s0, s1, v3, s0
	v_cmp_gt_u32_e64 s0, 0x82, v30
	s_clause 0x3
	global_load_b64 v[5:6], v[2:3], off offset:1352
	global_load_b64 v[7:8], v[2:3], off offset:2704
	;; [unrolled: 1-line block ×4, first 2 shown]
	ds_store_b64 v38, v[0:1]
	ds_load_b64 v[0:1], v38 offset:1352
	ds_load_b64 v[11:12], v4 offset:12168
	s_wait_dscnt 0x0
	v_add_f32_e32 v13, v0, v11
	v_add_f32_e32 v14, v12, v1
	v_dual_sub_f32 v15, v0, v11 :: v_dual_sub_f32 v0, v1, v12
	s_wait_loadcnt 0x3
	s_delay_alu instid0(VALU_DEP_1) | instskip(NEXT) | instid1(VALU_DEP_2)
	v_fma_f32 v16, v15, v6, v13
	v_fma_f32 v1, v14, v6, v0
	v_fma_f32 v11, -v15, v6, v13
	v_fma_f32 v12, v14, v6, -v0
	s_delay_alu instid0(VALU_DEP_4) | instskip(NEXT) | instid1(VALU_DEP_4)
	v_fma_f32 v0, -v5, v14, v16
	v_fmac_f32_e32 v1, v15, v5
	s_delay_alu instid0(VALU_DEP_3)
	v_dual_fmac_f32 v11, v5, v14 :: v_dual_fmac_f32 v12, v15, v5
	ds_store_b64 v38, v[0:1] offset:1352
	ds_store_b64 v4, v[11:12] offset:12168
	ds_load_b64 v[0:1], v38 offset:2704
	ds_load_b64 v[5:6], v4 offset:10816
	s_wait_dscnt 0x0
	v_add_f32_e32 v11, v0, v5
	v_add_f32_e32 v12, v6, v1
	v_dual_sub_f32 v13, v0, v5 :: v_dual_sub_f32 v0, v1, v6
	s_wait_loadcnt 0x2
	s_delay_alu instid0(VALU_DEP_1) | instskip(NEXT) | instid1(VALU_DEP_2)
	v_fma_f32 v14, v13, v8, v11
	v_fma_f32 v1, v12, v8, v0
	v_fma_f32 v5, -v13, v8, v11
	v_fma_f32 v6, v12, v8, -v0
	s_delay_alu instid0(VALU_DEP_4) | instskip(NEXT) | instid1(VALU_DEP_4)
	v_fma_f32 v0, -v7, v12, v14
	v_fmac_f32_e32 v1, v13, v7
	s_delay_alu instid0(VALU_DEP_3)
	v_dual_fmac_f32 v5, v7, v12 :: v_dual_fmac_f32 v6, v13, v7
	ds_store_b64 v38, v[0:1] offset:2704
	ds_store_b64 v4, v[5:6] offset:10816
	;; [unrolled: 19-line block ×3, first 2 shown]
	ds_load_b64 v[0:1], v38 offset:5408
	ds_load_b64 v[5:6], v4 offset:8112
	s_wait_dscnt 0x0
	v_add_f32_e32 v7, v0, v5
	v_sub_f32_e32 v9, v0, v5
	v_add_f32_e32 v8, v6, v1
	v_sub_f32_e32 v0, v1, v6
	s_wait_loadcnt 0x0
	s_delay_alu instid0(VALU_DEP_3) | instskip(SKIP_1) | instid1(VALU_DEP_3)
	v_fma_f32 v10, v9, v3, v7
	v_fma_f32 v5, -v9, v3, v7
	v_fma_f32 v1, v8, v3, v0
	s_delay_alu instid0(VALU_DEP_1) | instskip(SKIP_2) | instid1(VALU_DEP_2)
	v_fmac_f32_e32 v1, v9, v2
	v_fma_f32 v6, v8, v3, -v0
	v_fma_f32 v0, -v2, v8, v10
	v_dual_fmac_f32 v5, v2, v8 :: v_dual_fmac_f32 v6, v9, v2
	ds_store_b64 v38, v[0:1] offset:5408
	ds_store_b64 v4, v[5:6] offset:8112
	v_add_nc_u32_e32 v0, 0x1000, v38
	v_add_nc_u32_e32 v1, 0x2000, v38
	global_wb scope:SCOPE_SE
	s_wait_dscnt 0x0
	s_barrier_signal -1
	s_barrier_wait -1
	global_inv scope:SCOPE_SE
	global_wb scope:SCOPE_SE
	s_barrier_signal -1
	s_barrier_wait -1
	global_inv scope:SCOPE_SE
	ds_load_2addr_b64 v[4:7], v38 offset1:130
	ds_load_b64 v[36:37], v38 offset:12480
	ds_load_2addr_b64 v[24:27], v39 offset0:4 offset1:134
	ds_load_2addr_b64 v[8:11], v31 offset0:20 offset1:150
	;; [unrolled: 1-line block ×4, first 2 shown]
	v_add_nc_u32_e32 v0, 0x1800, v38
	ds_load_2addr_b64 v[16:19], v0 offset0:12 offset1:142
	global_wb scope:SCOPE_SE
	s_wait_dscnt 0x0
	s_barrier_signal -1
	s_barrier_wait -1
	global_inv scope:SCOPE_SE
	v_dual_sub_f32 v73, v7, v37 :: v_dual_add_f32 v40, v36, v6
	v_dual_add_f32 v79, v11, v25 :: v_dual_add_f32 v88, v13, v23
	v_sub_f32_e32 v78, v25, v11
	v_dual_sub_f32 v82, v21, v15 :: v_dual_sub_f32 v47, v20, v14
	s_delay_alu instid0(VALU_DEP_4)
	v_dual_mul_f32 v72, 0xbf52af12, v73 :: v_dual_add_f32 v77, v37, v7
	v_dual_add_f32 v44, v8, v26 :: v_dual_add_f32 v41, v10, v24
	v_add_f32_e32 v48, v12, v22
	v_dual_sub_f32 v43, v24, v10 :: v_dual_add_f32 v50, v18, v16
	v_dual_add_f32 v81, v9, v27 :: v_dual_add_f32 v90, v19, v17
	v_sub_f32_e32 v80, v27, v9
	v_dual_sub_f32 v87, v23, v13 :: v_dual_mul_f32 v76, 0xbeb58ec6, v79
	v_mul_f32_e32 v75, 0xbf6f5d39, v78
	v_fma_f32 v2, 0x3f116cb1, v40, -v72
	v_sub_f32_e32 v42, v6, v36
	v_dual_sub_f32 v45, v26, v8 :: v_dual_mul_f32 v62, 0x3f62ad3f, v77
	v_dual_sub_f32 v49, v22, v12 :: v_dual_mul_f32 v74, 0x3f116cb1, v77
	;; [unrolled: 1-line block ×3, first 2 shown]
	v_mul_f32_e32 v59, 0xbeedf032, v73
	v_dual_mul_f32 v61, 0x3df6dbef, v81 :: v_dual_add_f32 v2, v4, v2
	v_mul_f32_e32 v85, 0xbf7e222b, v73
	s_delay_alu instid0(VALU_DEP_4) | instskip(SKIP_4) | instid1(VALU_DEP_3)
	v_dual_mul_f32 v69, 0xbe750f2a, v80 :: v_dual_mul_f32 v52, 0xbe750f2a, v89
	v_fmamk_f32 v94, v43, 0xbf6f5d39, v76
	v_fma_f32 v93, 0xbeb58ec6, v41, -v75
	v_dual_add_f32 v83, v15, v21 :: v_dual_mul_f32 v60, 0xbf52af12, v78
	v_dual_mul_f32 v96, 0xbf52af12, v87 :: v_dual_fmamk_f32 v3, v42, 0xbf52af12, v74
	v_dual_mul_f32 v91, 0xbf29c268, v89 :: v_dual_add_f32 v2, v93, v2
	v_fma_f32 v0, 0x3f62ad3f, v40, -v59
	v_fmamk_f32 v102, v45, 0xbf7e222b, v61
	v_fma_f32 v34, 0x3df6dbef, v40, -v85
	v_fma_f32 v103, 0xbf788fa5, v44, -v69
	v_dual_sub_f32 v51, v16, v18 :: v_dual_mul_f32 v56, 0xbf7e222b, v80
	v_dual_mul_f32 v63, 0x3f116cb1, v79 :: v_dual_mul_f32 v100, 0x3f116cb1, v88
	v_dual_mul_f32 v71, 0xbf788fa5, v81 :: v_dual_mul_f32 v54, 0xbf788fa5, v90
	v_dual_mul_f32 v53, 0xbf29c268, v87 :: v_dual_add_f32 v34, v4, v34
	v_dual_mul_f32 v104, 0xbeb58ec6, v81 :: v_dual_add_f32 v3, v5, v3
	v_dual_fmamk_f32 v1, v42, 0xbeedf032, v62 :: v_dual_add_f32 v2, v103, v2
	v_mul_f32_e32 v84, 0x3f6f5d39, v80
	v_fma_f32 v35, 0x3f116cb1, v41, -v60
	v_fma_f32 v95, 0xbf788fa5, v41, -v86
	s_delay_alu instid0(VALU_DEP_4) | instskip(SKIP_2) | instid1(VALU_DEP_3)
	v_dual_add_f32 v1, v5, v1 :: v_dual_add_f32 v0, v4, v0
	v_add_f32_e32 v46, v14, v20
	v_dual_mul_f32 v67, 0x3df6dbef, v88 :: v_dual_mul_f32 v106, 0x3df6dbef, v77
	v_dual_mul_f32 v65, 0x3eedf032, v89 :: v_dual_add_f32 v0, v35, v0
	v_dual_mul_f32 v105, 0xbf788fa5, v79 :: v_dual_add_f32 v34, v95, v34
	v_dual_fmamk_f32 v92, v43, 0xbf52af12, v63 :: v_dual_add_f32 v3, v94, v3
	v_fma_f32 v98, 0x3df6dbef, v44, -v56
	v_mul_f32_e32 v97, 0x3eedf032, v82
	v_fma_f32 v120, 0xbeb58ec6, v44, -v84
	v_fmamk_f32 v107, v45, 0xbe750f2a, v71
	v_fma_f32 v122, 0x3f116cb1, v48, -v96
	v_add_f32_e32 v0, v98, v0
	v_fma_f32 v121, 0x3f62ad3f, v46, -v97
	v_add_f32_e32 v34, v120, v34
	v_dual_fmamk_f32 v124, v42, 0xbf7e222b, v106 :: v_dual_add_f32 v3, v107, v3
	v_mul_f32_e32 v55, 0xbf6f5d39, v82
	s_delay_alu instid0(VALU_DEP_3) | instskip(NEXT) | instid1(VALU_DEP_3)
	v_dual_fmamk_f32 v117, v51, 0xbe750f2a, v54 :: v_dual_add_f32 v34, v121, v34
	v_dual_fmamk_f32 v125, v43, 0xbe750f2a, v105 :: v_dual_add_f32 v124, v5, v124
	s_delay_alu instid0(VALU_DEP_3)
	v_fma_f32 v108, 0xbeb58ec6, v46, -v55
	v_dual_mul_f32 v58, 0xbeb58ec6, v83 :: v_dual_add_f32 v1, v92, v1
	v_dual_mul_f32 v70, 0xbf3f9e67, v83 :: v_dual_mul_f32 v57, 0xbf3f9e67, v88
	v_mul_f32_e32 v66, 0x3f29c268, v82
	v_dual_mul_f32 v68, 0x3f62ad3f, v90 :: v_dual_mul_f32 v101, 0x3f62ad3f, v83
	v_dual_mul_f32 v99, 0xbf3f9e67, v90 :: v_dual_add_f32 v0, v108, v0
	v_fma_f32 v112, 0xbf3f9e67, v48, -v53
	v_dual_fmamk_f32 v126, v45, 0x3f6f5d39, v104 :: v_dual_add_f32 v1, v102, v1
	v_dual_add_f32 v92, v122, v34 :: v_dual_add_f32 v35, v125, v124
	v_dual_mul_f32 v64, 0x3f7e222b, v87 :: v_dual_fmamk_f32 v115, v49, 0x3f7e222b, v67
	v_fmamk_f32 v111, v47, 0x3f29c268, v70
	v_fma_f32 v110, 0xbf3f9e67, v46, -v66
	v_fmamk_f32 v109, v47, 0xbf6f5d39, v58
	v_dual_fmamk_f32 v113, v49, 0xbf29c268, v57 :: v_dual_add_f32 v0, v112, v0
	v_fma_f32 v116, 0xbf788fa5, v50, -v52
	v_fmamk_f32 v127, v47, 0x3eedf032, v101
	v_dual_fmamk_f32 v128, v49, 0xbf52af12, v100 :: v_dual_add_f32 v35, v126, v35
	v_fma_f32 v114, 0x3df6dbef, v48, -v64
	v_fma_f32 v123, 0xbf3f9e67, v50, -v91
	v_dual_add_f32 v2, v110, v2 :: v_dual_add_f32 v1, v109, v1
	v_dual_add_f32 v3, v111, v3 :: v_dual_add_f32 v34, v116, v0
	s_delay_alu instid0(VALU_DEP_3)
	v_add_f32_e32 v0, v123, v92
	v_add_f32_e32 v35, v127, v35
	v_fma_f32 v118, 0x3f62ad3f, v50, -v65
	v_dual_fmamk_f32 v119, v51, 0x3eedf032, v68 :: v_dual_add_f32 v2, v114, v2
	v_fmamk_f32 v129, v51, 0xbf29c268, v99
	v_add_f32_e32 v1, v113, v1
	v_add_f32_e32 v3, v115, v3
	s_delay_alu instid0(VALU_DEP_4) | instskip(NEXT) | instid1(VALU_DEP_3)
	v_dual_add_f32 v93, v128, v35 :: v_dual_add_f32 v2, v118, v2
	v_add_f32_e32 v35, v117, v1
	s_delay_alu instid0(VALU_DEP_3) | instskip(NEXT) | instid1(VALU_DEP_3)
	v_add_f32_e32 v3, v119, v3
	v_add_f32_e32 v1, v129, v93
	s_and_saveexec_b32 s1, s0
	s_cbranch_execz .LBB0_21
; %bb.20:
	v_dual_mul_f32 v95, 0x3f62ad3f, v79 :: v_dual_add_f32 v6, v4, v6
	v_dual_mul_f32 v94, 0xbeb58ec6, v88 :: v_dual_add_f32 v7, v5, v7
	v_mul_f32_e32 v92, 0x3f116cb1, v83
	s_delay_alu instid0(VALU_DEP_3) | instskip(SKIP_4) | instid1(VALU_DEP_4)
	v_fmamk_f32 v108, v43, 0xbeedf032, v95
	v_mul_f32_e32 v103, 0xbe750f2a, v73
	v_mul_f32_e32 v98, 0xbf788fa5, v77
	v_add_f32_e32 v7, v7, v25
	v_dual_mul_f32 v93, 0xbf3f9e67, v81 :: v_dual_add_f32 v6, v6, v24
	v_fmamk_f32 v109, v40, 0xbf788fa5, v103
	s_delay_alu instid0(VALU_DEP_4) | instskip(SKIP_2) | instid1(VALU_DEP_3)
	v_fmamk_f32 v107, v42, 0x3e750f2a, v98
	v_mul_f32_e32 v102, 0x3eedf032, v78
	v_dual_mul_f32 v110, 0xbf29c268, v80 :: v_dual_mul_f32 v115, 0xbf29c268, v73
	v_dual_mul_f32 v114, 0xbf3f9e67, v77 :: v_dual_add_f32 v107, v5, v107
	v_mul_f32_e32 v122, 0xbf788fa5, v83
	v_mul_f32_e32 v83, 0x3df6dbef, v83
	;; [unrolled: 1-line block ×3, first 2 shown]
	s_delay_alu instid0(VALU_DEP_4) | instskip(SKIP_4) | instid1(VALU_DEP_3)
	v_dual_mul_f32 v121, 0xbf52af12, v80 :: v_dual_add_f32 v24, v108, v107
	v_fmamk_f32 v25, v41, 0x3f62ad3f, v102
	v_dual_add_f32 v107, v4, v109 :: v_dual_add_f32 v108, v7, v27
	v_add_f32_e32 v109, v6, v26
	v_mul_f32_e32 v112, 0x3f52af12, v82
	v_dual_fmamk_f32 v6, v44, 0xbf3f9e67, v110 :: v_dual_add_f32 v7, v25, v107
	v_fmamk_f32 v111, v45, 0x3f29c268, v93
	v_fmamk_f32 v27, v40, 0xbf3f9e67, v115
	s_delay_alu instid0(VALU_DEP_4) | instskip(SKIP_4) | instid1(VALU_DEP_3)
	v_fmamk_f32 v26, v46, 0x3f116cb1, v112
	v_mul_f32_e32 v116, 0x3df6dbef, v79
	v_dual_add_f32 v6, v6, v7 :: v_dual_fmamk_f32 v25, v47, 0xbf52af12, v92
	v_dual_add_f32 v24, v111, v24 :: v_dual_mul_f32 v111, 0x3df6dbef, v90
	v_fmamk_f32 v120, v41, 0x3df6dbef, v117
	v_dual_add_f32 v6, v26, v6 :: v_dual_mul_f32 v113, 0x3f7e222b, v89
	s_delay_alu instid0(VALU_DEP_3) | instskip(SKIP_2) | instid1(VALU_DEP_4)
	v_dual_mul_f32 v107, 0xbf6f5d39, v87 :: v_dual_add_f32 v24, v25, v24
	v_add_f32_e32 v27, v4, v27
	v_mul_f32_e32 v73, 0xbf6f5d39, v73
	v_fmamk_f32 v26, v50, 0x3df6dbef, v113
	s_delay_alu instid0(VALU_DEP_4) | instskip(NEXT) | instid1(VALU_DEP_4)
	v_fmamk_f32 v25, v48, 0xbeb58ec6, v107
	v_dual_fmamk_f32 v118, v43, 0xbf7e222b, v116 :: v_dual_add_f32 v27, v120, v27
	v_dual_mul_f32 v119, 0x3f116cb1, v81 :: v_dual_fmamk_f32 v120, v44, 0x3f116cb1, v121
	v_mul_f32_e32 v123, 0x3e750f2a, v82
	s_delay_alu instid0(VALU_DEP_4) | instskip(SKIP_1) | instid1(VALU_DEP_4)
	v_dual_fmamk_f32 v127, v40, 0xbeb58ec6, v73 :: v_dual_add_f32 v6, v25, v6
	v_dual_fmamk_f32 v25, v42, 0x3f29c268, v114 :: v_dual_mul_f32 v78, 0x3f29c268, v78
	v_dual_mul_f32 v124, 0x3f62ad3f, v88 :: v_dual_add_f32 v27, v120, v27
	s_delay_alu instid0(VALU_DEP_3) | instskip(SKIP_1) | instid1(VALU_DEP_4)
	v_dual_fmamk_f32 v120, v46, 0xbf788fa5, v123 :: v_dual_add_f32 v127, v4, v127
	v_fmamk_f32 v7, v49, 0x3f6f5d39, v94
	v_add_f32_e32 v25, v5, v25
	v_dual_mul_f32 v125, 0x3eedf032, v87 :: v_dual_mul_f32 v80, 0x3eedf032, v80
	v_fmamk_f32 v129, v41, 0xbf3f9e67, v78
	s_delay_alu instid0(VALU_DEP_4) | instskip(NEXT) | instid1(VALU_DEP_4)
	v_add_f32_e32 v7, v7, v24
	v_dual_fmamk_f32 v24, v51, 0xbf7e222b, v111 :: v_dual_add_f32 v25, v118, v25
	v_fmamk_f32 v118, v45, 0x3f52af12, v119
	v_mul_f32_e32 v79, 0xbf3f9e67, v79
	v_add_f32_e32 v127, v129, v127
	s_delay_alu instid0(VALU_DEP_4)
	v_add_f32_e32 v7, v24, v7
	v_add_f32_e32 v24, v120, v27
	v_mul_f32_e32 v120, 0xbf6f5d39, v89
	v_fmamk_f32 v129, v44, 0x3f62ad3f, v80
	v_mul_f32_e32 v82, 0xbf7e222b, v82
	v_fmamk_f32 v128, v43, 0xbf29c268, v79
	v_mul_f32_e32 v87, 0x3e750f2a, v87
	v_dual_mul_f32 v77, 0xbeb58ec6, v77 :: v_dual_fmamk_f32 v126, v50, 0xbeb58ec6, v120
	v_add_f32_e32 v127, v129, v127
	v_fmamk_f32 v129, v46, 0x3df6dbef, v82
	v_dual_mul_f32 v88, 0xbf788fa5, v88 :: v_dual_add_f32 v25, v118, v25
	v_dual_mul_f32 v81, 0x3f62ad3f, v81 :: v_dual_add_f32 v6, v26, v6
	s_delay_alu instid0(VALU_DEP_3) | instskip(SKIP_4) | instid1(VALU_DEP_3)
	v_add_f32_e32 v127, v129, v127
	v_fmamk_f32 v129, v48, 0xbf788fa5, v87
	v_fmamk_f32 v27, v48, 0x3f62ad3f, v125
	v_mul_f32_e32 v89, 0x3f52af12, v89
	v_dual_fmac_f32 v114, 0xbf29c268, v42 :: v_dual_fmac_f32 v93, 0xbf29c268, v45
	v_dual_fmac_f32 v95, 0x3eedf032, v43 :: v_dual_add_f32 v24, v27, v24
	v_fmamk_f32 v27, v42, 0x3f6f5d39, v77
	v_fmamk_f32 v118, v47, 0xbe750f2a, v122
	v_fmac_f32_e32 v111, 0x3f7e222b, v51
	s_delay_alu instid0(VALU_DEP_4) | instskip(NEXT) | instid1(VALU_DEP_4)
	v_dual_add_f32 v21, v108, v21 :: v_dual_add_f32 v24, v126, v24
	v_add_f32_e32 v27, v5, v27
	s_delay_alu instid0(VALU_DEP_4) | instskip(SKIP_1) | instid1(VALU_DEP_3)
	v_dual_add_f32 v25, v118, v25 :: v_dual_fmamk_f32 v118, v49, 0xbeedf032, v124
	v_dual_add_f32 v126, v129, v127 :: v_dual_mul_f32 v127, 0xbf7e222b, v42
	v_add_f32_e32 v27, v128, v27
	v_add_f32_e32 v21, v21, v23
	s_delay_alu instid0(VALU_DEP_4) | instskip(SKIP_4) | instid1(VALU_DEP_4)
	v_dual_add_f32 v25, v118, v25 :: v_dual_mul_f32 v118, 0xbeb58ec6, v90
	v_fmamk_f32 v128, v45, 0xbeedf032, v81
	v_mul_f32_e32 v90, 0x3f116cb1, v90
	v_sub_f32_e32 v106, v106, v127
	v_fmamk_f32 v127, v50, 0x3f116cb1, v89
	v_dual_fmamk_f32 v26, v51, 0x3f6f5d39, v118 :: v_dual_add_f32 v27, v128, v27
	v_fmamk_f32 v128, v47, 0x3f7e222b, v83
	v_mul_f32_e32 v129, 0xbf788fa5, v41
	v_add_f32_e32 v17, v21, v17
	s_delay_alu instid0(VALU_DEP_4) | instskip(NEXT) | instid1(VALU_DEP_4)
	v_dual_add_f32 v25, v26, v25 :: v_dual_fmac_f32 v98, 0xbe750f2a, v42
	v_dual_add_f32 v27, v128, v27 :: v_dual_fmamk_f32 v128, v49, 0xbe750f2a, v88
	s_delay_alu instid0(VALU_DEP_4) | instskip(NEXT) | instid1(VALU_DEP_4)
	v_add_f32_e32 v86, v129, v86
	v_add_f32_e32 v17, v17, v19
	v_fmac_f32_e32 v116, 0x3f7e222b, v43
	v_fmac_f32_e32 v92, 0x3f52af12, v47
	v_dual_add_f32 v26, v128, v27 :: v_dual_fmamk_f32 v27, v51, 0xbf52af12, v90
	s_delay_alu instid0(VALU_DEP_4) | instskip(SKIP_1) | instid1(VALU_DEP_3)
	v_dual_mul_f32 v128, 0xbe750f2a, v43 :: v_dual_add_f32 v13, v17, v13
	v_fmac_f32_e32 v94, 0xbf6f5d39, v49
	v_dual_fmac_f32 v122, 0x3e750f2a, v47 :: v_dual_add_f32 v27, v27, v26
	s_delay_alu instid0(VALU_DEP_3) | instskip(SKIP_3) | instid1(VALU_DEP_4)
	v_dual_mul_f32 v26, 0x3df6dbef, v40 :: v_dual_add_f32 v13, v13, v15
	v_fmac_f32_e32 v124, 0x3eedf032, v49
	v_fmac_f32_e32 v118, 0xbf6f5d39, v51
	;; [unrolled: 1-line block ×3, first 2 shown]
	v_dual_add_f32 v26, v26, v85 :: v_dual_sub_f32 v85, v105, v128
	v_dual_add_f32 v105, v5, v106 :: v_dual_mul_f32 v106, 0x3f6f5d39, v45
	s_delay_alu instid0(VALU_DEP_2) | instskip(NEXT) | instid1(VALU_DEP_2)
	v_add_f32_e32 v26, v4, v26
	v_sub_f32_e32 v104, v104, v106
	s_delay_alu instid0(VALU_DEP_2) | instskip(SKIP_2) | instid1(VALU_DEP_1)
	v_add_f32_e32 v26, v86, v26
	v_mul_f32_e32 v86, 0x3f62ad3f, v46
	v_dual_mul_f32 v128, 0xbeb58ec6, v44 :: v_dual_add_f32 v85, v85, v105
	v_add_f32_e32 v84, v128, v84
	s_delay_alu instid0(VALU_DEP_2) | instskip(SKIP_1) | instid1(VALU_DEP_3)
	v_add_f32_e32 v85, v104, v85
	v_mul_f32_e32 v104, 0xbf52af12, v49
	v_add_f32_e32 v26, v84, v26
	v_add_f32_e32 v84, v86, v97
	v_mul_f32_e32 v86, 0x3f116cb1, v48
	s_delay_alu instid0(VALU_DEP_4) | instskip(NEXT) | instid1(VALU_DEP_3)
	v_dual_sub_f32 v97, v100, v104 :: v_dual_mul_f32 v100, 0xbf29c268, v51
	v_dual_mul_f32 v105, 0x3eedf032, v47 :: v_dual_add_f32 v84, v84, v26
	s_delay_alu instid0(VALU_DEP_3) | instskip(SKIP_1) | instid1(VALU_DEP_3)
	v_add_f32_e32 v86, v86, v96
	v_add_f32_e32 v26, v127, v126
	v_dual_sub_f32 v96, v99, v100 :: v_dual_sub_f32 v101, v101, v105
	s_delay_alu instid0(VALU_DEP_3) | instskip(NEXT) | instid1(VALU_DEP_2)
	v_dual_mul_f32 v99, 0xbf6f5d39, v43 :: v_dual_add_f32 v84, v86, v84
	v_dual_mul_f32 v86, 0x3f116cb1, v40 :: v_dual_add_f32 v85, v101, v85
	s_delay_alu instid0(VALU_DEP_2) | instskip(NEXT) | instid1(VALU_DEP_2)
	v_sub_f32_e32 v76, v76, v99
	v_dual_add_f32 v72, v86, v72 :: v_dual_add_f32 v85, v97, v85
	s_delay_alu instid0(VALU_DEP_1) | instskip(NEXT) | instid1(VALU_DEP_1)
	v_dual_mul_f32 v97, 0xbf52af12, v42 :: v_dual_add_f32 v72, v4, v72
	v_dual_sub_f32 v74, v74, v97 :: v_dual_mul_f32 v97, 0xbf3f9e67, v50
	v_mul_f32_e32 v100, 0xbeb58ec6, v41
	s_delay_alu instid0(VALU_DEP_2) | instskip(NEXT) | instid1(VALU_DEP_3)
	v_add_f32_e32 v74, v5, v74
	v_add_f32_e32 v91, v97, v91
	s_delay_alu instid0(VALU_DEP_3) | instskip(NEXT) | instid1(VALU_DEP_3)
	v_add_f32_e32 v75, v100, v75
	v_dual_mul_f32 v97, 0xbf788fa5, v44 :: v_dual_add_f32 v74, v76, v74
	s_delay_alu instid0(VALU_DEP_2) | instskip(SKIP_1) | instid1(VALU_DEP_3)
	v_dual_add_f32 v72, v75, v72 :: v_dual_mul_f32 v75, 0x3f29c268, v47
	v_mul_f32_e32 v86, 0xbe750f2a, v45
	v_add_f32_e32 v69, v97, v69
	s_delay_alu instid0(VALU_DEP_2) | instskip(SKIP_2) | instid1(VALU_DEP_3)
	v_dual_sub_f32 v75, v70, v75 :: v_dual_sub_f32 v76, v71, v86
	v_add_f32_e32 v71, v96, v85
	v_dual_mul_f32 v85, 0xbf3f9e67, v46 :: v_dual_add_f32 v70, v91, v84
	v_dual_add_f32 v69, v69, v72 :: v_dual_add_f32 v74, v76, v74
	s_delay_alu instid0(VALU_DEP_2) | instskip(NEXT) | instid1(VALU_DEP_2)
	v_add_f32_e32 v66, v85, v66
	v_dual_add_f32 v74, v75, v74 :: v_dual_mul_f32 v75, 0xbf52af12, v43
	s_delay_alu instid0(VALU_DEP_2) | instskip(NEXT) | instid1(VALU_DEP_2)
	v_dual_add_f32 v66, v66, v69 :: v_dual_mul_f32 v69, 0x3eedf032, v51
	v_dual_mul_f32 v72, 0x3f7e222b, v49 :: v_dual_sub_f32 v63, v63, v75
	s_delay_alu instid0(VALU_DEP_1) | instskip(SKIP_2) | instid1(VALU_DEP_3)
	v_dual_sub_f32 v68, v68, v69 :: v_dual_sub_f32 v67, v67, v72
	v_mul_f32_e32 v72, 0x3f62ad3f, v50
	v_mul_f32_e32 v69, 0xbeedf032, v42
	v_dual_add_f32 v67, v67, v74 :: v_dual_mul_f32 v74, 0x3f62ad3f, v40
	s_delay_alu instid0(VALU_DEP_2) | instskip(NEXT) | instid1(VALU_DEP_2)
	v_dual_sub_f32 v62, v62, v69 :: v_dual_mul_f32 v69, 0xbf6f5d39, v47
	v_dual_mul_f32 v76, 0x3df6dbef, v48 :: v_dual_add_f32 v59, v74, v59
	v_mul_f32_e32 v74, 0xbf3f9e67, v48
	s_delay_alu instid0(VALU_DEP_2) | instskip(NEXT) | instid1(VALU_DEP_3)
	v_add_f32_e32 v64, v76, v64
	v_dual_add_f32 v59, v4, v59 :: v_dual_add_f32 v62, v5, v62
	s_delay_alu instid0(VALU_DEP_2) | instskip(SKIP_4) | instid1(VALU_DEP_4)
	v_add_f32_e32 v64, v64, v66
	v_add_f32_e32 v66, v72, v65
	v_dual_mul_f32 v72, 0x3f116cb1, v41 :: v_dual_add_f32 v65, v68, v67
	v_mul_f32_e32 v67, 0xbf7e222b, v45
	v_mul_f32_e32 v68, 0xbeb58ec6, v46
	v_add_f32_e32 v64, v66, v64
	v_dual_mul_f32 v66, 0x3df6dbef, v44 :: v_dual_add_f32 v23, v63, v62
	s_delay_alu instid0(VALU_DEP_4) | instskip(SKIP_1) | instid1(VALU_DEP_3)
	v_dual_sub_f32 v61, v61, v67 :: v_dual_add_f32 v60, v72, v60
	v_mul_f32_e32 v62, 0xbf788fa5, v50
	v_dual_add_f32 v56, v66, v56 :: v_dual_mul_f32 v63, 0xbe750f2a, v51
	s_delay_alu instid0(VALU_DEP_3) | instskip(NEXT) | instid1(VALU_DEP_4)
	v_dual_add_f32 v23, v61, v23 :: v_dual_mul_f32 v72, 0xbf29c268, v49
	v_dual_add_f32 v21, v60, v59 :: v_dual_add_f32 v20, v109, v20
	v_add_f32_e32 v9, v13, v9
	s_delay_alu instid0(VALU_DEP_2) | instskip(NEXT) | instid1(VALU_DEP_3)
	v_add_f32_e32 v21, v56, v21
	v_dual_add_f32 v19, v20, v22 :: v_dual_sub_f32 v20, v58, v69
	v_add_f32_e32 v22, v68, v55
	s_delay_alu instid0(VALU_DEP_2) | instskip(SKIP_1) | instid1(VALU_DEP_3)
	v_add_f32_e32 v16, v19, v16
	v_sub_f32_e32 v19, v57, v72
	v_dual_add_f32 v17, v20, v23 :: v_dual_add_f32 v20, v22, v21
	v_mad_u32_u24 v21, 0x60, v30, v38
	s_delay_alu instid0(VALU_DEP_4) | instskip(NEXT) | instid1(VALU_DEP_3)
	v_dual_add_f32 v15, v16, v18 :: v_dual_add_f32 v16, v74, v53
	v_dual_add_f32 v17, v19, v17 :: v_dual_sub_f32 v18, v54, v63
	s_delay_alu instid0(VALU_DEP_2) | instskip(NEXT) | instid1(VALU_DEP_3)
	v_add_f32_e32 v13, v15, v12
	v_add_f32_e32 v15, v16, v20
	;; [unrolled: 1-line block ×3, first 2 shown]
	s_delay_alu instid0(VALU_DEP_4)
	v_add_f32_e32 v12, v18, v17
	v_fma_f32 v17, 0x3df6dbef, v41, -v117
	v_add_f32_e32 v13, v13, v14
	v_fma_f32 v14, 0xbf788fa5, v40, -v103
	v_add_f32_e32 v9, v9, v11
	v_add_f32_e32 v11, v16, v15
	v_fma_f32 v15, 0x3f62ad3f, v41, -v102
	v_add_f32_e32 v8, v13, v8
	v_add_f32_e32 v13, v5, v98
	v_dual_add_f32 v14, v4, v14 :: v_dual_add_f32 v9, v9, v37
	v_fma_f32 v16, 0x3df6dbef, v50, -v113
	s_delay_alu instid0(VALU_DEP_4) | instskip(NEXT) | instid1(VALU_DEP_4)
	v_add_f32_e32 v8, v8, v10
	v_add_f32_e32 v10, v95, v13
	s_delay_alu instid0(VALU_DEP_4) | instskip(SKIP_3) | instid1(VALU_DEP_3)
	v_add_f32_e32 v13, v15, v14
	v_fma_f32 v14, 0xbf3f9e67, v44, -v110
	v_add_f32_e32 v15, v5, v114
	v_dual_fmac_f32 v119, 0xbf52af12, v45 :: v_dual_add_f32 v8, v8, v36
	v_dual_add_f32 v10, v93, v10 :: v_dual_add_f32 v13, v14, v13
	v_fma_f32 v14, 0x3f116cb1, v46, -v112
	v_fma_f32 v20, 0x3f116cb1, v50, -v89
	s_delay_alu instid0(VALU_DEP_3) | instskip(SKIP_1) | instid1(VALU_DEP_4)
	v_add_f32_e32 v10, v92, v10
	v_add_f32_e32 v15, v116, v15
	;; [unrolled: 1-line block ×3, first 2 shown]
	v_fma_f32 v14, 0xbeb58ec6, v48, -v107
	s_delay_alu instid0(VALU_DEP_3) | instskip(NEXT) | instid1(VALU_DEP_1)
	v_dual_add_f32 v10, v94, v10 :: v_dual_add_f32 v15, v119, v15
	v_dual_add_f32 v13, v14, v13 :: v_dual_add_f32 v14, v111, v10
	v_fma_f32 v10, 0xbf3f9e67, v40, -v115
	s_delay_alu instid0(VALU_DEP_2) | instskip(SKIP_1) | instid1(VALU_DEP_3)
	v_add_f32_e32 v13, v16, v13
	v_fma_f32 v16, 0xbeb58ec6, v40, -v73
	v_dual_add_f32 v15, v122, v15 :: v_dual_add_f32 v10, v4, v10
	s_delay_alu instid0(VALU_DEP_2) | instskip(SKIP_2) | instid1(VALU_DEP_4)
	v_add_f32_e32 v4, v4, v16
	v_fma_f32 v16, 0xbf3f9e67, v41, -v78
	v_fmac_f32_e32 v77, 0xbf6f5d39, v42
	v_dual_add_f32 v15, v124, v15 :: v_dual_add_f32 v10, v17, v10
	v_fma_f32 v17, 0x3f116cb1, v44, -v121
	s_delay_alu instid0(VALU_DEP_4) | instskip(SKIP_2) | instid1(VALU_DEP_4)
	v_dual_fmac_f32 v79, 0x3f29c268, v43 :: v_dual_add_f32 v4, v16, v4
	v_fma_f32 v16, 0x3f62ad3f, v44, -v80
	v_add_f32_e32 v5, v5, v77
	v_add_f32_e32 v10, v17, v10
	v_fma_f32 v17, 0xbf788fa5, v46, -v123
	s_delay_alu instid0(VALU_DEP_3) | instskip(SKIP_1) | instid1(VALU_DEP_3)
	v_dual_add_f32 v4, v16, v4 :: v_dual_add_f32 v5, v79, v5
	v_fma_f32 v16, 0x3df6dbef, v46, -v82
	v_dual_add_f32 v10, v17, v10 :: v_dual_fmac_f32 v81, 0x3eedf032, v45
	v_fma_f32 v17, 0x3f62ad3f, v48, -v125
	s_delay_alu instid0(VALU_DEP_3) | instskip(SKIP_1) | instid1(VALU_DEP_4)
	v_dual_fmac_f32 v83, 0xbf7e222b, v47 :: v_dual_add_f32 v4, v16, v4
	v_fma_f32 v16, 0xbf788fa5, v48, -v87
	v_add_f32_e32 v5, v81, v5
	v_fmac_f32_e32 v88, 0x3e750f2a, v49
	v_add_f32_e32 v10, v17, v10
	v_fma_f32 v17, 0xbeb58ec6, v50, -v120
	v_add_f32_e32 v19, v16, v4
	s_delay_alu instid0(VALU_DEP_2) | instskip(NEXT) | instid1(VALU_DEP_1)
	v_dual_add_f32 v5, v83, v5 :: v_dual_add_f32 v4, v17, v10
	v_dual_add_f32 v18, v88, v5 :: v_dual_add_f32 v5, v118, v15
	s_delay_alu instid0(VALU_DEP_1)
	v_dual_add_f32 v15, v20, v19 :: v_dual_add_f32 v16, v90, v18
	ds_store_2addr_b64 v21, v[8:9], v[11:12] offset1:1
	ds_store_2addr_b64 v21, v[64:65], v[70:71] offset0:2 offset1:3
	ds_store_2addr_b64 v21, v[26:27], v[24:25] offset0:4 offset1:5
	;; [unrolled: 1-line block ×5, first 2 shown]
	ds_store_b64 v21, v[34:35] offset:96
.LBB0_21:
	s_wait_alu 0xfffe
	s_or_b32 exec_lo, exec_lo, s1
	v_and_b32_e32 v4, 0xff, v30
	global_wb scope:SCOPE_SE
	s_wait_dscnt 0x0
	s_barrier_signal -1
	s_barrier_wait -1
	global_inv scope:SCOPE_SE
	v_mul_lo_u16 v4, 0x4f, v4
	s_delay_alu instid0(VALU_DEP_1) | instskip(NEXT) | instid1(VALU_DEP_1)
	v_lshrrev_b16 v40, 10, v4
	v_mul_lo_u16 v4, v40, 13
	s_delay_alu instid0(VALU_DEP_1) | instskip(NEXT) | instid1(VALU_DEP_1)
	v_sub_nc_u16 v4, v30, v4
	v_and_b32_e32 v47, 0xff, v4
	s_delay_alu instid0(VALU_DEP_1) | instskip(NEXT) | instid1(VALU_DEP_1)
	v_mul_u32_u24_e32 v4, 9, v47
	v_lshlrev_b32_e32 v20, 3, v4
	s_clause 0x4
	global_load_b128 v[4:7], v20, s[8:9]
	global_load_b128 v[8:11], v20, s[8:9] offset:16
	global_load_b128 v[12:15], v20, s[8:9] offset:32
	;; [unrolled: 1-line block ×3, first 2 shown]
	global_load_b64 v[36:37], v20, s[8:9] offset:64
	ds_load_2addr_b64 v[24:27], v39 offset0:82 offset1:251
	v_add_nc_u32_e32 v41, 0x1400, v38
	v_add_nc_u32_e32 v43, 0x1e00, v38
	v_and_b32_e32 v48, 0xffff, v40
	ds_load_2addr_b64 v[20:23], v38 offset1:169
	ds_load_2addr_b64 v[39:42], v41 offset0:36 offset1:205
	ds_load_2addr_b64 v[43:46], v43 offset0:54 offset1:223
	v_lshlrev_b32_e32 v52, 3, v47
	s_wait_loadcnt_dscnt 0x303
	v_mul_f32_e32 v53, v9, v27
	v_mul_u32_u24_e32 v51, 0x410, v48
	ds_load_2addr_b64 v[47:50], v31 offset0:72 offset1:241
	s_wait_dscnt 0x2
	v_dual_mul_f32 v54, v11, v40 :: v_dual_mul_f32 v9, v9, v26
	s_wait_loadcnt 0x2
	v_mul_f32_e32 v55, v13, v42
	v_add3_u32 v31, 0, v51, v52
	v_mul_f32_e32 v52, v7, v25
	v_fmac_f32_e32 v54, v10, v39
	v_mul_f32_e32 v51, v5, v23
	v_mul_f32_e32 v5, v5, v22
	;; [unrolled: 1-line block ×3, first 2 shown]
	v_dual_mul_f32 v11, v11, v39 :: v_dual_fmac_f32 v52, v6, v24
	s_wait_dscnt 0x1
	v_dual_mul_f32 v56, v44, v15 :: v_dual_mul_f32 v13, v13, v41
	v_mul_f32_e32 v15, v43, v15
	v_fmac_f32_e32 v51, v4, v22
	v_fma_f32 v22, v4, v23, -v5
	v_fma_f32 v4, v6, v25, -v7
	;; [unrolled: 1-line block ×3, first 2 shown]
	v_fmac_f32_e32 v53, v8, v26
	s_wait_loadcnt_dscnt 0x100
	v_mul_f32_e32 v58, v48, v19
	v_mul_f32_e32 v19, v47, v19
	;; [unrolled: 1-line block ×3, first 2 shown]
	v_fma_f32 v5, v8, v27, -v9
	v_fmac_f32_e32 v56, v43, v14
	s_wait_loadcnt 0x0
	v_dual_fmac_f32 v58, v47, v18 :: v_dual_mul_f32 v59, v50, v37
	v_mul_f32_e32 v37, v49, v37
	v_fma_f32 v10, v48, v18, -v19
	v_mul_f32_e32 v17, v45, v17
	v_fma_f32 v7, v12, v42, -v13
	v_sub_f32_e32 v26, v52, v58
	v_fma_f32 v11, v50, v36, -v37
	v_fmac_f32_e32 v55, v12, v41
	v_add_f32_e32 v12, v20, v52
	v_fma_f32 v8, v44, v14, -v15
	v_sub_f32_e32 v14, v4, v10
	v_fma_f32 v9, v46, v16, -v17
	v_dual_fmac_f32 v57, v45, v16 :: v_dual_add_f32 v18, v52, v58
	s_delay_alu instid0(VALU_DEP_4) | instskip(SKIP_1) | instid1(VALU_DEP_4)
	v_dual_fmac_f32 v59, v49, v36 :: v_dual_sub_f32 v40, v8, v10
	v_sub_f32_e32 v36, v4, v6
	v_dual_sub_f32 v64, v9, v11 :: v_dual_add_f32 v13, v54, v56
	s_delay_alu instid0(VALU_DEP_4)
	v_add_f32_e32 v42, v55, v57
	v_dual_sub_f32 v16, v52, v54 :: v_dual_sub_f32 v17, v58, v56
	v_dual_sub_f32 v46, v59, v57 :: v_dual_sub_f32 v23, v56, v58
	v_add_f32_e32 v50, v22, v5
	v_add_f32_e32 v24, v21, v4
	;; [unrolled: 1-line block ×3, first 2 shown]
	v_fma_f32 v13, -0.5, v13, v20
	v_add_f32_e32 v63, v5, v11
	v_dual_add_f32 v39, v4, v10 :: v_dual_sub_f32 v4, v6, v4
	v_dual_sub_f32 v19, v54, v52 :: v_dual_sub_f32 v48, v55, v53
	v_dual_add_f32 v41, v51, v53 :: v_dual_add_f32 v12, v12, v54
	v_dual_sub_f32 v15, v6, v8 :: v_dual_sub_f32 v44, v7, v9
	v_dual_sub_f32 v43, v5, v11 :: v_dual_add_f32 v16, v16, v17
	v_dual_sub_f32 v45, v53, v55 :: v_dual_add_f32 v6, v24, v6
	v_add_f32_e32 v52, v7, v9
	v_fma_f32 v20, -0.5, v18, v20
	v_add_f32_e32 v17, v19, v23
	v_fma_f32 v23, -0.5, v25, v21
	v_dual_add_f32 v6, v6, v8 :: v_dual_add_f32 v19, v41, v55
	v_dual_sub_f32 v37, v10, v8 :: v_dual_sub_f32 v62, v11, v9
	v_dual_sub_f32 v49, v57, v59 :: v_dual_add_f32 v4, v4, v40
	v_dual_sub_f32 v61, v5, v7 :: v_dual_add_f32 v12, v12, v56
	v_sub_f32_e32 v5, v7, v5
	v_fma_f32 v24, -0.5, v42, v51
	v_fmamk_f32 v40, v14, 0xbf737871, v13
	v_dual_fmamk_f32 v41, v15, 0x3f737871, v20 :: v_dual_add_f32 v6, v6, v10
	v_fmac_f32_e32 v20, 0xbf737871, v15
	v_dual_fmamk_f32 v42, v26, 0x3f737871, v23 :: v_dual_add_f32 v25, v45, v46
	v_dual_add_f32 v8, v19, v57 :: v_dual_fmac_f32 v13, 0x3f737871, v14
	v_dual_sub_f32 v27, v54, v56 :: v_dual_sub_f32 v60, v55, v57
	v_dual_add_f32 v47, v53, v59 :: v_dual_add_f32 v18, v36, v37
	v_fma_f32 v37, -0.5, v52, v22
	v_fmac_f32_e32 v22, -0.5, v63
	v_fmac_f32_e32 v20, 0x3f167918, v14
	v_add_f32_e32 v8, v8, v59
	v_fmac_f32_e32 v13, 0x3f167918, v15
	v_fmac_f32_e32 v51, -0.5, v47
	v_dual_sub_f32 v53, v53, v59 :: v_dual_add_f32 v36, v48, v49
	s_delay_alu instid0(VALU_DEP_3)
	v_dual_fmac_f32 v20, 0x3e9e377a, v17 :: v_dual_fmac_f32 v13, 0x3e9e377a, v16
	v_fmamk_f32 v47, v60, 0xbf737871, v22
	v_dual_fmac_f32 v22, 0x3f737871, v60 :: v_dual_add_f32 v7, v50, v7
	v_fmamk_f32 v46, v44, 0x3f737871, v51
	v_fmac_f32_e32 v40, 0xbf167918, v15
	v_fma_f32 v21, -0.5, v39, v21
	v_dual_add_f32 v5, v5, v64 :: v_dual_add_f32 v12, v12, v58
	s_delay_alu instid0(VALU_DEP_3) | instskip(SKIP_1) | instid1(VALU_DEP_3)
	v_dual_add_f32 v7, v7, v9 :: v_dual_fmac_f32 v40, 0x3e9e377a, v16
	v_fmac_f32_e32 v47, 0x3f167918, v53
	v_dual_fmamk_f32 v45, v27, 0xbf737871, v21 :: v_dual_sub_f32 v10, v12, v8
	s_delay_alu instid0(VALU_DEP_3)
	v_add_f32_e32 v7, v7, v11
	v_fmac_f32_e32 v21, 0x3f737871, v27
	v_dual_fmac_f32 v41, 0xbf167918, v14 :: v_dual_fmac_f32 v46, 0xbf167918, v43
	v_fmac_f32_e32 v47, 0x3e9e377a, v5
	v_add_f32_e32 v39, v61, v62
	v_fmac_f32_e32 v23, 0xbf737871, v26
	v_fmamk_f32 v19, v43, 0xbf737871, v24
	v_fmac_f32_e32 v24, 0x3f737871, v43
	v_mul_f32_e32 v14, 0xbf737871, v47
	v_dual_fmac_f32 v42, 0x3f167918, v27 :: v_dual_fmac_f32 v45, 0x3f167918, v26
	v_fmac_f32_e32 v21, 0xbf167918, v26
	v_fmac_f32_e32 v46, 0x3e9e377a, v36
	;; [unrolled: 1-line block ×3, first 2 shown]
	s_delay_alu instid0(VALU_DEP_4) | instskip(SKIP_1) | instid1(VALU_DEP_4)
	v_dual_fmac_f32 v41, 0x3e9e377a, v17 :: v_dual_fmac_f32 v42, 0x3e9e377a, v18
	v_fmac_f32_e32 v45, 0x3e9e377a, v4
	v_dual_fmac_f32 v21, 0x3e9e377a, v4 :: v_dual_fmac_f32 v14, 0x3e9e377a, v46
	v_fmac_f32_e32 v51, 0xbf737871, v44
	v_dual_add_f32 v4, v12, v8 :: v_dual_fmac_f32 v23, 0xbf167918, v27
	v_fmac_f32_e32 v22, 0x3e9e377a, v5
	s_delay_alu instid0(VALU_DEP_4) | instskip(NEXT) | instid1(VALU_DEP_4)
	v_add_f32_e32 v16, v41, v14
	v_dual_fmac_f32 v24, 0x3f167918, v44 :: v_dual_fmac_f32 v51, 0x3f167918, v43
	v_sub_f32_e32 v11, v6, v7
	s_delay_alu instid0(VALU_DEP_4) | instskip(NEXT) | instid1(VALU_DEP_3)
	v_mul_f32_e32 v15, 0xbf737871, v22
	v_dual_fmac_f32 v23, 0x3e9e377a, v18 :: v_dual_fmac_f32 v24, 0x3e9e377a, v25
	s_delay_alu instid0(VALU_DEP_4) | instskip(SKIP_3) | instid1(VALU_DEP_4)
	v_fmac_f32_e32 v51, 0x3e9e377a, v36
	v_mul_f32_e32 v36, 0xbe9e377a, v22
	v_fmamk_f32 v9, v53, 0x3f737871, v37
	v_dual_fmac_f32 v19, 0xbf167918, v44 :: v_dual_sub_f32 v14, v41, v14
	v_fmac_f32_e32 v15, 0xbe9e377a, v51
	v_fmac_f32_e32 v37, 0xbf737871, v53
	v_mul_f32_e32 v27, 0x3e9e377a, v47
	s_delay_alu instid0(VALU_DEP_4)
	v_fmac_f32_e32 v19, 0x3e9e377a, v25
	global_wb scope:SCOPE_SE
	v_dual_add_f32 v18, v20, v15 :: v_dual_fmac_f32 v37, 0xbf167918, v60
	v_sub_f32_e32 v20, v20, v15
	s_barrier_signal -1
	s_barrier_wait -1
	global_inv scope:SCOPE_SE
	v_fmac_f32_e32 v37, 0x3e9e377a, v39
	s_delay_alu instid0(VALU_DEP_1) | instskip(SKIP_1) | instid1(VALU_DEP_2)
	v_mul_f32_e32 v25, 0xbf167918, v37
	v_mul_f32_e32 v37, 0xbf4f1bbd, v37
	v_fmac_f32_e32 v25, 0xbf4f1bbd, v24
	s_delay_alu instid0(VALU_DEP_1) | instskip(SKIP_2) | instid1(VALU_DEP_1)
	v_dual_fmac_f32 v37, 0x3f167918, v24 :: v_dual_sub_f32 v22, v13, v25
	v_fmac_f32_e32 v36, 0x3f737871, v51
	v_dual_fmac_f32 v9, 0x3f167918, v60 :: v_dual_add_f32 v8, v13, v25
	v_fmac_f32_e32 v9, 0x3e9e377a, v39
	v_add_f32_e32 v5, v6, v7
	v_fmac_f32_e32 v27, 0x3f737871, v46
	s_delay_alu instid0(VALU_DEP_3) | instskip(NEXT) | instid1(VALU_DEP_2)
	v_mul_f32_e32 v26, 0x3f4f1bbd, v9
	v_dual_mul_f32 v12, 0xbf167918, v9 :: v_dual_add_f32 v17, v45, v27
	v_add_f32_e32 v9, v23, v37
	v_sub_f32_e32 v15, v45, v27
	s_delay_alu instid0(VALU_DEP_4) | instskip(NEXT) | instid1(VALU_DEP_4)
	v_fmac_f32_e32 v26, 0x3f167918, v19
	v_dual_fmac_f32 v12, 0x3f4f1bbd, v19 :: v_dual_add_f32 v19, v21, v36
	v_sub_f32_e32 v21, v21, v36
	v_sub_f32_e32 v23, v23, v37
	s_delay_alu instid0(VALU_DEP_3)
	v_dual_add_f32 v7, v42, v26 :: v_dual_add_f32 v6, v40, v12
	v_dual_sub_f32 v12, v40, v12 :: v_dual_sub_f32 v13, v42, v26
	ds_store_2addr_b64 v31, v[4:5], v[6:7] offset1:13
	ds_store_2addr_b64 v31, v[16:17], v[18:19] offset0:26 offset1:39
	ds_store_2addr_b64 v31, v[8:9], v[10:11] offset0:52 offset1:65
	;; [unrolled: 1-line block ×4, first 2 shown]
	global_wb scope:SCOPE_SE
	s_wait_dscnt 0x0
	s_barrier_signal -1
	s_barrier_wait -1
	global_inv scope:SCOPE_SE
	s_and_saveexec_b32 s1, s0
	s_cbranch_execz .LBB0_23
; %bb.22:
	v_add_nc_u32_e32 v0, 0x800, v38
	v_add_nc_u32_e32 v1, 0x1000, v38
	;; [unrolled: 1-line block ×5, first 2 shown]
	ds_load_2addr_b64 v[4:7], v38 offset1:130
	ds_load_2addr_b64 v[16:19], v0 offset0:4 offset1:134
	ds_load_2addr_b64 v[8:11], v1 offset0:8 offset1:138
	;; [unrolled: 1-line block ×5, first 2 shown]
	ds_load_b64 v[34:35], v38 offset:12480
.LBB0_23:
	s_wait_alu 0xfffe
	s_or_b32 exec_lo, exec_lo, s1
	global_wb scope:SCOPE_SE
	s_wait_dscnt 0x0
	s_barrier_signal -1
	s_barrier_wait -1
	global_inv scope:SCOPE_SE
	s_and_saveexec_b32 s1, s0
	s_cbranch_execz .LBB0_25
; %bb.24:
	v_dual_mov_b32 v25, 0 :: v_dual_add_nc_u32 v24, 0xffffff7e, v30
	s_delay_alu instid0(VALU_DEP_1) | instskip(NEXT) | instid1(VALU_DEP_1)
	v_cndmask_b32_e64 v24, v24, v30, s0
	v_mul_i32_i24_e32 v24, 12, v24
	s_delay_alu instid0(VALU_DEP_1) | instskip(NEXT) | instid1(VALU_DEP_1)
	v_lshlrev_b64_e32 v[24:25], 3, v[24:25]
	v_add_co_u32 v24, s0, s8, v24
	s_wait_alu 0xf1ff
	s_delay_alu instid0(VALU_DEP_2)
	v_add_co_ci_u32_e64 v25, s0, s9, v25, s0
	s_clause 0x5
	global_load_b128 v[40:43], v[24:25], off offset:1016
	global_load_b128 v[44:47], v[24:25], off offset:936
	;; [unrolled: 1-line block ×6, first 2 shown]
	s_wait_loadcnt 0x5
	v_mul_f32_e32 v24, v35, v43
	s_wait_loadcnt 0x4
	v_dual_mul_f32 v64, v6, v45 :: v_dual_mul_f32 v65, v16, v47
	s_wait_loadcnt 0x3
	v_dual_mul_f32 v45, v7, v45 :: v_dual_mul_f32 v26, v1, v51
	v_mul_f32_e32 v31, v34, v43
	v_mul_f32_e32 v43, v2, v41
	s_wait_loadcnt 0x2
	v_dual_mul_f32 v47, v17, v47 :: v_dual_mul_f32 v66, v18, v53
	s_wait_loadcnt 0x1
	v_dual_mul_f32 v25, v3, v41 :: v_dual_mul_f32 v36, v21, v59
	;; [unrolled: 2-line block ×3, first 2 shown]
	v_fmac_f32_e32 v26, v0, v50
	v_fma_f32 v31, v35, v42, -v31
	v_fma_f32 v35, v7, v44, -v64
	v_dual_mul_f32 v53, v19, v53 :: v_dual_fmac_f32 v24, v34, v42
	v_fma_f32 v34, v3, v40, -v43
	v_fma_f32 v42, v17, v46, -v65
	v_mul_f32_e32 v67, v8, v55
	v_fmac_f32_e32 v47, v16, v46
	v_dual_fmac_f32 v25, v2, v40 :: v_dual_sub_f32 v46, v35, v31
	v_mul_f32_e32 v55, v9, v55
	v_fma_f32 v16, v1, v50, -v41
	v_fma_f32 v40, v19, v52, -v66
	v_mul_f32_e32 v27, v23, v49
	v_dual_mul_f32 v51, v22, v49 :: v_dual_fmac_f32 v36, v20, v58
	v_dual_mul_f32 v69, v12, v63 :: v_dual_mul_f32 v86, 0xbf6f5d39, v46
	s_delay_alu instid0(VALU_DEP_3)
	v_fmac_f32_e32 v27, v22, v48
	v_dual_fmac_f32 v45, v6, v44 :: v_dual_sub_f32 v6, v47, v25
	v_fmac_f32_e32 v55, v8, v54
	v_fma_f32 v17, v23, v48, -v51
	v_dual_mul_f32 v39, v13, v63 :: v_dual_sub_f32 v48, v42, v34
	v_fma_f32 v19, v13, v62, -v69
	v_fmac_f32_e32 v53, v18, v52
	v_mul_f32_e32 v37, v15, v57
	v_sub_f32_e32 v2, v55, v27
	v_mul_f32_e32 v61, v11, v61
	v_dual_fmac_f32 v39, v12, v62 :: v_dual_add_f32 v12, v45, v24
	v_mul_f32_e32 v62, 0xbe750f2a, v46
	v_add_f32_e32 v22, v40, v16
	s_delay_alu instid0(VALU_DEP_4)
	v_dual_fmac_f32 v61, v10, v60 :: v_dual_add_f32 v10, v53, v26
	v_fmac_f32_e32 v37, v14, v56
	v_mul_f32_e32 v49, v20, v59
	v_dual_mul_f32 v59, v14, v57 :: v_dual_add_f32 v14, v35, v31
	v_add_f32_e32 v20, v42, v34
	v_fma_f32 v23, v9, v54, -v67
	v_add_f32_e32 v35, v5, v35
	s_delay_alu instid0(VALU_DEP_4)
	v_fma_f32 v15, v15, v56, -v59
	v_mul_f32_e32 v80, 0xbeb58ec6, v14
	v_mul_f32_e32 v56, 0x3f62ad3f, v20
	v_sub_f32_e32 v0, v39, v37
	v_fma_f32 v18, v21, v58, -v49
	v_fma_f32 v21, v11, v60, -v68
	v_dual_sub_f32 v49, v40, v16 :: v_dual_add_f32 v44, v19, v15
	v_sub_f32_e32 v52, v19, v15
	s_delay_alu instid0(VALU_DEP_3) | instskip(NEXT) | instid1(VALU_DEP_3)
	v_dual_sub_f32 v50, v23, v17 :: v_dual_add_f32 v43, v21, v18
	v_dual_mul_f32 v76, 0xbf52af12, v49 :: v_dual_sub_f32 v51, v21, v18
	v_mul_f32_e32 v54, 0xbf788fa5, v14
	v_mul_f32_e32 v68, 0xbf3f9e67, v14
	s_delay_alu instid0(VALU_DEP_4) | instskip(NEXT) | instid1(VALU_DEP_4)
	v_dual_mul_f32 v84, 0xbf788fa5, v43 :: v_dual_add_f32 v41, v23, v17
	v_mul_f32_e32 v66, 0xbf6f5d39, v51
	v_dual_mul_f32 v69, 0x3df6dbef, v20 :: v_dual_mul_f32 v92, 0x3df6dbef, v14
	v_dual_mul_f32 v72, 0x3f62ad3f, v43 :: v_dual_sub_f32 v13, v45, v24
	v_mul_f32_e32 v64, 0xbf29c268, v49
	v_dual_add_f32 v45, v4, v45 :: v_dual_mul_f32 v82, 0x3f62ad3f, v22
	v_dual_mul_f32 v58, 0x3f116cb1, v41 :: v_dual_sub_f32 v1, v61, v36
	v_mul_f32_e32 v73, 0xbeb58ec6, v44
	v_mul_f32_e32 v79, 0xbf6f5d39, v52
	v_dual_mul_f32 v95, 0x3f62ad3f, v41 :: v_dual_mul_f32 v116, 0x3f62ad3f, v14
	v_dual_mul_f32 v104, 0x3f116cb1, v14 :: v_dual_mul_f32 v117, 0x3f116cb1, v20
	v_add_f32_e32 v14, v35, v42
	v_dual_add_f32 v11, v47, v25 :: v_dual_mul_f32 v70, 0x3f116cb1, v22
	v_dual_add_f32 v8, v61, v36 :: v_dual_add_f32 v7, v39, v37
	v_mul_f32_e32 v78, 0x3eedf032, v51
	v_mul_f32_e32 v57, 0xbf3f9e67, v22
	v_dual_mul_f32 v59, 0xbeb58ec6, v43 :: v_dual_mul_f32 v94, 0xbeb58ec6, v22
	v_dual_mul_f32 v63, 0x3eedf032, v48 :: v_dual_mul_f32 v88, 0x3eedf032, v49
	;; [unrolled: 1-line block ×4, first 2 shown]
	v_dual_mul_f32 v81, 0xbf3f9e67, v20 :: v_dual_fmamk_f32 v122, v10, 0xbf3f9e67, v64
	v_dual_mul_f32 v87, 0x3f29c268, v48 :: v_dual_fmamk_f32 v126, v13, 0x3f29c268, v68
	v_dual_mul_f32 v89, 0xbf7e222b, v50 :: v_dual_add_f32 v14, v14, v40
	v_dual_mul_f32 v105, 0xbeb58ec6, v20 :: v_dual_fmamk_f32 v124, v8, 0xbeb58ec6, v66
	v_dual_mul_f32 v118, 0x3df6dbef, v22 :: v_dual_fmamk_f32 v125, v7, 0x3df6dbef, v67
	;; [unrolled: 1-line block ×3, first 2 shown]
	v_fmamk_f32 v22, v13, 0x3e750f2a, v54
	v_dual_mul_f32 v93, 0xbf788fa5, v20 :: v_dual_add_f32 v20, v45, v47
	v_dual_sub_f32 v3, v53, v26 :: v_dual_mul_f32 v60, 0x3df6dbef, v44
	v_mul_f32_e32 v75, 0x3f7e222b, v48
	v_dual_mul_f32 v83, 0x3df6dbef, v41 :: v_dual_mul_f32 v108, 0x3df6dbef, v43
	v_dual_mul_f32 v107, 0xbf3f9e67, v41 :: v_dual_fmamk_f32 v140, v11, 0xbf3f9e67, v87
	v_dual_fmamk_f32 v121, v11, 0x3f62ad3f, v63 :: v_dual_add_f32 v40, v4, v40
	v_dual_add_f32 v20, v20, v53 :: v_dual_fmamk_f32 v53, v13, 0x3f7e222b, v92
	v_dual_add_f32 v9, v55, v27 :: v_dual_mul_f32 v74, 0xbf29c268, v46
	v_dual_mul_f32 v91, 0x3f52af12, v52 :: v_dual_add_f32 v14, v14, v23
	s_delay_alu instid0(VALU_DEP_3)
	v_dual_mul_f32 v102, 0xbf52af12, v51 :: v_dual_add_f32 v53, v5, v53
	v_dual_mul_f32 v120, 0xbf788fa5, v44 :: v_dual_fmamk_f32 v47, v12, 0xbf788fa5, v62
	v_dual_fmamk_f32 v127, v6, 0xbf7e222b, v69 :: v_dual_add_f32 v40, v140, v40
	v_dual_add_f32 v22, v5, v22 :: v_dual_fmamk_f32 v23, v6, 0x3e750f2a, v93
	v_fmamk_f32 v140, v13, 0x3eedf032, v116
	v_dual_mul_f32 v85, 0x3f116cb1, v44 :: v_dual_mul_f32 v96, 0x3f116cb1, v43
	v_dual_mul_f32 v97, 0xbf3f9e67, v44 :: v_dual_fmamk_f32 v132, v12, 0xbf3f9e67, v74
	v_dual_mul_f32 v109, 0x3f62ad3f, v44 :: v_dual_fmamk_f32 v136, v8, 0x3f62ad3f, v78
	v_dual_mul_f32 v110, 0xbf52af12, v46 :: v_dual_add_f32 v47, v4, v47
	v_dual_fmamk_f32 v44, v1, 0x3f6f5d39, v59 :: v_dual_add_f32 v23, v23, v53
	v_dual_fmamk_f32 v133, v11, 0x3df6dbef, v75 :: v_dual_add_f32 v140, v5, v140
	v_fma_f32 v74, 0xbf3f9e67, v12, -v74
	v_fmamk_f32 v53, v6, 0x3f52af12, v117
	v_mul_f32_e32 v98, 0xbf7e222b, v46
	v_dual_mul_f32 v99, 0xbe750f2a, v48 :: v_dual_mul_f32 v112, 0xbe750f2a, v49
	v_mul_f32_e32 v111, 0xbf6f5d39, v48
	v_dual_mul_f32 v48, 0xbf52af12, v48 :: v_dual_add_f32 v47, v121, v47
	v_fmac_f32_e32 v54, 0xbe750f2a, v13
	v_dual_add_f32 v74, v4, v74 :: v_dual_add_f32 v53, v53, v140
	v_dual_mul_f32 v100, 0x3f6f5d39, v49 :: v_dual_fmamk_f32 v131, v0, 0x3f6f5d39, v73
	v_dual_mul_f32 v101, 0x3eedf032, v50 :: v_dual_add_f32 v20, v20, v55
	v_dual_mul_f32 v103, 0xbf29c268, v52 :: v_dual_add_f32 v126, v5, v126
	v_dual_mul_f32 v46, 0xbeedf032, v46 :: v_dual_fmamk_f32 v35, v6, 0xbeedf032, v56
	v_mul_f32_e32 v49, 0xbf7e222b, v49
	v_dual_fmamk_f32 v137, v7, 0xbeb58ec6, v79 :: v_dual_add_f32 v54, v5, v54
	v_fmamk_f32 v55, v12, 0x3df6dbef, v98
	v_dual_fmac_f32 v56, 0x3eedf032, v6 :: v_dual_add_f32 v47, v122, v47
	v_fmamk_f32 v121, v13, 0x3f52af12, v104
	v_fma_f32 v75, 0x3df6dbef, v11, -v75
	v_dual_mul_f32 v65, 0x3f52af12, v50 :: v_dual_fmamk_f32 v128, v3, 0x3f52af12, v70
	v_dual_mul_f32 v115, 0x3eedf032, v52 :: v_dual_add_f32 v22, v35, v22
	v_dual_mul_f32 v43, 0xbf3f9e67, v43 :: v_dual_add_f32 v126, v127, v126
	v_dual_fmamk_f32 v35, v11, 0xbf788fa5, v99 :: v_dual_add_f32 v20, v20, v61
	v_dual_add_f32 v54, v56, v54 :: v_dual_add_f32 v121, v5, v121
	v_add_f32_e32 v74, v75, v74
	v_fmamk_f32 v56, v9, 0x3df6dbef, v89
	v_dual_fmamk_f32 v42, v2, 0xbf52af12, v58 :: v_dual_add_f32 v55, v4, v55
	v_dual_fmamk_f32 v75, v3, 0xbf6f5d39, v94 :: v_dual_add_f32 v126, v128, v126
	v_dual_mul_f32 v113, 0x3f29c268, v50 :: v_dual_add_f32 v132, v4, v132
	s_delay_alu instid0(VALU_DEP_3) | instskip(SKIP_1) | instid1(VALU_DEP_4)
	v_dual_fmamk_f32 v130, v1, 0xbeedf032, v72 :: v_dual_add_f32 v35, v35, v55
	v_dual_fmamk_f32 v138, v13, 0x3f6f5d39, v80 :: v_dual_fmamk_f32 v127, v6, 0x3f6f5d39, v105
	v_dual_fmac_f32 v80, 0xbf6f5d39, v13 :: v_dual_add_f32 v23, v75, v23
	v_fmamk_f32 v55, v12, 0x3f62ad3f, v46
	v_dual_mul_f32 v77, 0x3e750f2a, v50 :: v_dual_mul_f32 v90, 0x3e750f2a, v51
	s_delay_alu instid0(VALU_DEP_4)
	v_dual_mul_f32 v51, 0xbf29c268, v51 :: v_dual_add_f32 v138, v5, v138
	v_dual_fmamk_f32 v41, v3, 0x3f29c268, v57 :: v_dual_add_f32 v132, v133, v132
	v_dual_fmamk_f32 v123, v9, 0x3f116cb1, v65 :: v_dual_fmamk_f32 v134, v10, 0x3f116cb1, v76
	v_fma_f32 v62, 0xbf788fa5, v12, -v62
	v_dual_fmamk_f32 v139, v6, 0xbf29c268, v81 :: v_dual_fmac_f32 v68, 0xbf29c268, v13
	v_dual_add_f32 v80, v5, v80 :: v_dual_add_f32 v55, v4, v55
	v_mul_f32_e32 v50, 0xbf6f5d39, v50
	v_fma_f32 v63, 0x3f62ad3f, v11, -v63
	v_add_f32_e32 v62, v4, v62
	v_dual_fmamk_f32 v45, v0, 0xbf7e222b, v60 :: v_dual_add_f32 v138, v139, v138
	v_fmamk_f32 v133, v12, 0x3f116cb1, v110
	v_dual_fmamk_f32 v139, v11, 0xbeb58ec6, v111 :: v_dual_add_f32 v68, v5, v68
	v_dual_fmac_f32 v69, 0x3f7e222b, v6 :: v_dual_add_f32 v132, v134, v132
	v_add_f32_e32 v121, v127, v121
	v_fmac_f32_e32 v81, 0x3f29c268, v6
	v_fmamk_f32 v127, v11, 0x3f116cb1, v48
	v_fma_f32 v98, 0x3df6dbef, v12, -v98
	v_dual_fmamk_f32 v135, v9, 0xbf788fa5, v77 :: v_dual_add_f32 v14, v14, v21
	v_dual_add_f32 v62, v63, v62 :: v_dual_add_f32 v133, v4, v133
	v_fma_f32 v86, 0xbeb58ec6, v12, -v86
	v_dual_add_f32 v80, v81, v80 :: v_dual_add_f32 v55, v127, v55
	v_fmac_f32_e32 v92, 0xbf7e222b, v13
	v_dual_fmamk_f32 v127, v1, 0xbe750f2a, v84 :: v_dual_add_f32 v98, v4, v98
	v_fma_f32 v99, 0xbf788fa5, v11, -v99
	v_dual_add_f32 v133, v139, v133 :: v_dual_add_f32 v86, v4, v86
	s_delay_alu instid0(VALU_DEP_4) | instskip(NEXT) | instid1(VALU_DEP_3)
	v_dual_fmamk_f32 v139, v3, 0xbeedf032, v82 :: v_dual_add_f32 v92, v5, v92
	v_dual_fmamk_f32 v63, v8, 0xbf788fa5, v90 :: v_dual_add_f32 v98, v99, v98
	v_fma_f32 v87, 0xbf3f9e67, v11, -v87
	v_dual_fmac_f32 v93, 0xbe750f2a, v6 :: v_dual_add_f32 v14, v14, v19
	v_dual_fmamk_f32 v134, v3, 0x3e750f2a, v106 :: v_dual_add_f32 v19, v20, v39
	v_fma_f32 v39, 0xbf3f9e67, v10, -v64
	v_fma_f32 v64, 0x3f116cb1, v10, -v76
	v_fmamk_f32 v99, v10, 0xbeb58ec6, v100
	v_fmac_f32_e32 v82, 0x3eedf032, v3
	v_dual_fmamk_f32 v21, v0, 0xbf52af12, v85 :: v_dual_add_f32 v86, v87, v86
	v_dual_fmamk_f32 v61, v10, 0x3f62ad3f, v88 :: v_dual_add_f32 v92, v93, v92
	v_dual_add_f32 v68, v69, v68 :: v_dual_fmamk_f32 v69, v7, 0x3f116cb1, v91
	v_dual_add_f32 v22, v41, v22 :: v_dual_fmamk_f32 v81, v2, 0xbeedf032, v95
	v_add_f32_e32 v138, v139, v138
	v_dual_fmamk_f32 v20, v2, 0x3f6f5d39, v119 :: v_dual_add_f32 v39, v39, v62
	v_add_f32_e32 v64, v64, v74
	v_dual_fmamk_f32 v122, v8, 0x3f116cb1, v102 :: v_dual_add_f32 v35, v99, v35
	v_dual_fmac_f32 v59, 0xbf6f5d39, v1 :: v_dual_add_f32 v14, v14, v15
	v_fma_f32 v65, 0x3f116cb1, v9, -v65
	v_dual_fmac_f32 v94, 0x3f6f5d39, v3 :: v_dual_add_f32 v15, v19, v37
	v_fmamk_f32 v99, v3, 0x3f7e222b, v118
	v_fmac_f32_e32 v95, 0x3eedf032, v2
	v_dual_fmamk_f32 v41, v9, 0x3f62ad3f, v101 :: v_dual_add_f32 v76, v82, v80
	v_fma_f32 v82, 0x3f62ad3f, v10, -v88
	v_dual_mul_f32 v52, 0xbe750f2a, v52 :: v_dual_fmamk_f32 v129, v2, 0xbe750f2a, v71
	v_fmamk_f32 v140, v2, 0x3f7e222b, v83
	v_dual_fmamk_f32 v128, v7, 0xbf3f9e67, v103 :: v_dual_add_f32 v121, v134, v121
	v_add_f32_e32 v40, v61, v40
	v_dual_fmamk_f32 v61, v1, 0xbf7e222b, v108 :: v_dual_add_f32 v82, v82, v86
	v_fmamk_f32 v75, v10, 0xbf788fa5, v112
	v_fmac_f32_e32 v57, 0xbf29c268, v3
	v_fmac_f32_e32 v70, 0xbf52af12, v3
	v_dual_fmac_f32 v104, 0xbf52af12, v13 :: v_dual_add_f32 v37, v65, v39
	v_fmamk_f32 v139, v2, 0xbf29c268, v107
	v_dual_add_f32 v86, v94, v92 :: v_dual_add_f32 v53, v99, v53
	v_dual_fmamk_f32 v99, v9, 0xbf3f9e67, v113 :: v_dual_add_f32 v22, v42, v22
	v_add_f32_e32 v42, v123, v47
	v_dual_fmamk_f32 v134, v10, 0x3df6dbef, v49 :: v_dual_add_f32 v75, v75, v133
	v_dual_fmamk_f32 v133, v0, 0xbeedf032, v109 :: v_dual_add_f32 v92, v135, v132
	;; [unrolled: 1-line block ×3, first 2 shown]
	s_delay_alu instid0(VALU_DEP_3)
	v_dual_add_f32 v55, v134, v55 :: v_dual_fmamk_f32 v62, v0, 0x3e750f2a, v120
	v_dual_fmamk_f32 v80, v7, 0xbf788fa5, v52 :: v_dual_add_f32 v35, v41, v35
	v_dual_fmac_f32 v58, 0x3f52af12, v2 :: v_dual_fmac_f32 v85, 0x3f52af12, v0
	v_dual_fmac_f32 v71, 0x3e750f2a, v2 :: v_dual_fmac_f32 v84, 0x3e750f2a, v1
	v_fma_f32 v77, 0xbf788fa5, v9, -v77
	v_fmac_f32_e32 v83, 0xbf7e222b, v2
	v_fma_f32 v88, 0x3df6dbef, v9, -v89
	v_fma_f32 v89, 0xbf788fa5, v8, -v90
	v_add_f32_e32 v90, v5, v104
	v_add_f32_e32 v47, v129, v126
	v_dual_fmamk_f32 v87, v1, 0x3f52af12, v96 :: v_dual_add_f32 v68, v70, v68
	v_dual_fmamk_f32 v70, v9, 0xbeb58ec6, v50 :: v_dual_add_f32 v41, v139, v121
	v_add_f32_e32 v94, v140, v138
	v_dual_fmamk_f32 v93, v0, 0x3f29c268, v97 :: v_dual_add_f32 v54, v57, v54
	v_fmamk_f32 v134, v8, 0x3df6dbef, v114
	v_dual_fmamk_f32 v57, v1, 0x3f29c268, v43 :: v_dual_add_f32 v56, v99, v75
	v_fmac_f32_e32 v60, 0x3f7e222b, v0
	v_fma_f32 v66, 0xbeb58ec6, v8, -v66
	v_dual_fmac_f32 v72, 0x3eedf032, v1 :: v_dual_add_f32 v19, v58, v54
	v_dual_fmac_f32 v73, 0xbf6f5d39, v0 :: v_dual_add_f32 v20, v20, v53
	v_fmac_f32_e32 v105, 0xbf6f5d39, v6
	v_add_f32_e32 v53, v70, v55
	v_dual_add_f32 v39, v71, v68 :: v_dual_add_f32 v58, v88, v82
	v_add_f32_e32 v54, v77, v64
	v_dual_add_f32 v55, v83, v76 :: v_dual_add_f32 v22, v44, v22
	;; [unrolled: 2-line block ×3, first 2 shown]
	v_dual_add_f32 v40, v63, v40 :: v_dual_add_f32 v35, v122, v35
	v_dual_add_f32 v41, v61, v41 :: v_dual_add_f32 v36, v15, v36
	s_delay_alu instid0(VALU_DEP_3)
	v_dual_add_f32 v61, v14, v18 :: v_dual_add_f32 v18, v137, v47
	v_fma_f32 v78, 0x3f62ad3f, v8, -v78
	v_dual_add_f32 v65, v127, v94 :: v_dual_add_f32 v56, v134, v56
	v_add_f32_e32 v57, v57, v20
	v_dual_add_f32 v37, v66, v37 :: v_dual_add_f32 v20, v69, v40
	v_dual_add_f32 v39, v72, v39 :: v_dual_add_f32 v40, v61, v17
	v_dual_fmamk_f32 v74, v8, 0xbf3f9e67, v51 :: v_dual_add_f32 v23, v81, v23
	v_add_f32_e32 v21, v21, v65
	v_dual_add_f32 v27, v36, v27 :: v_dual_fmac_f32 v96, 0xbf52af12, v1
	s_delay_alu instid0(VALU_DEP_4)
	v_add_f32_e32 v40, v40, v16
	v_fma_f32 v67, 0x3df6dbef, v7, -v67
	v_dual_add_f32 v42, v124, v42 :: v_dual_add_f32 v23, v87, v23
	v_dual_add_f32 v55, v84, v55 :: v_dual_add_f32 v36, v133, v41
	;; [unrolled: 1-line block ×4, first 2 shown]
	v_add_f32_e32 v41, v27, v26
	v_dual_add_f32 v59, v59, v19 :: v_dual_add_f32 v14, v125, v42
	v_dual_add_f32 v23, v93, v23 :: v_dual_add_f32 v26, v67, v37
	s_delay_alu instid0(VALU_DEP_3) | instskip(SKIP_3) | instid1(VALU_DEP_4)
	v_dual_add_f32 v42, v34, v31 :: v_dual_add_f32 v37, v41, v25
	v_dual_fmac_f32 v106, 0xbe750f2a, v3 :: v_dual_add_f32 v53, v74, v53
	v_add_f32_e32 v58, v89, v58
	v_fma_f32 v34, 0x3f116cb1, v7, -v91
	v_dual_add_f32 v41, v37, v24 :: v_dual_fmac_f32 v108, 0x3f7e222b, v1
	v_fma_f32 v24, 0xbeb58ec6, v10, -v100
	v_add_f32_e32 v25, v85, v55
	v_fma_f32 v37, 0x3f62ad3f, v9, -v101
	v_fma_f32 v45, 0x3f116cb1, v8, -v102
	v_add_f32_e32 v27, v60, v59
	v_add_f32_e32 v24, v24, v98
	v_dual_fmac_f32 v118, 0xbf7e222b, v3 :: v_dual_add_f32 v31, v105, v90
	v_fmac_f32_e32 v116, 0xbeedf032, v13
	v_fma_f32 v79, 0xbeb58ec6, v7, -v79
	s_delay_alu instid0(VALU_DEP_4)
	v_add_f32_e32 v37, v37, v24
	v_fmac_f32_e32 v107, 0x3f29c268, v2
	v_add_f32_e32 v24, v34, v58
	v_dual_add_f32 v54, v78, v54 :: v_dual_add_f32 v19, v131, v44
	v_add_f32_e32 v16, v80, v53
	v_add_f32_e32 v34, v45, v37
	v_fma_f32 v45, 0x3f116cb1, v12, -v110
	v_fma_f32 v12, 0x3f62ad3f, v12, -v46
	v_fmac_f32_e32 v117, 0xbf52af12, v6
	v_fma_f32 v6, 0x3f116cb1, v11, -v48
	v_dual_add_f32 v17, v62, v57 :: v_dual_add_f32 v40, v73, v39
	v_add_f32_e32 v13, v4, v45
	v_fma_f32 v45, 0xbeb58ec6, v11, -v111
	v_add_f32_e32 v4, v4, v12
	v_fma_f32 v12, 0xbf788fa5, v10, -v112
	v_dual_add_f32 v39, v79, v54 :: v_dual_add_f32 v44, v96, v64
	s_delay_alu instid0(VALU_DEP_4) | instskip(NEXT) | instid1(VALU_DEP_4)
	v_add_f32_e32 v11, v45, v13
	v_add_f32_e32 v3, v6, v4
	v_fma_f32 v4, 0x3df6dbef, v10, -v49
	v_fmac_f32_e32 v97, 0xbf29c268, v0
	s_delay_alu instid0(VALU_DEP_4) | instskip(SKIP_2) | instid1(VALU_DEP_4)
	v_dual_fmac_f32 v109, 0x3eedf032, v0 :: v_dual_add_f32 v6, v12, v11
	v_add_f32_e32 v31, v106, v31
	v_fma_f32 v10, 0xbf3f9e67, v9, -v113
	v_dual_add_f32 v44, v97, v44 :: v_dual_fmac_f32 v119, 0xbf6f5d39, v2
	v_add_f32_e32 v2, v4, v3
	v_fma_f32 v3, 0xbeb58ec6, v9, -v50
	s_delay_alu instid0(VALU_DEP_4) | instskip(SKIP_2) | instid1(VALU_DEP_4)
	v_dual_add_f32 v31, v107, v31 :: v_dual_add_f32 v4, v10, v6
	v_fma_f32 v6, 0x3df6dbef, v8, -v114
	v_fmac_f32_e32 v43, 0xbf29c268, v1
	v_add_f32_e32 v1, v3, v2
	v_fma_f32 v2, 0xbf3f9e67, v8, -v51
	v_add_f32_e32 v5, v5, v116
	v_add_f32_e32 v3, v6, v4
	v_fma_f32 v4, 0x3f62ad3f, v7, -v115
	v_dual_add_f32 v31, v108, v31 :: v_dual_fmac_f32 v120, 0xbe750f2a, v0
	v_add_f32_e32 v2, v2, v1
	s_delay_alu instid0(VALU_DEP_3) | instskip(SKIP_3) | instid1(VALU_DEP_4)
	v_dual_add_f32 v5, v117, v5 :: v_dual_add_f32 v0, v4, v3
	v_add_nc_u32_e32 v4, 0x800, v38
	v_add_nc_u32_e32 v8, 0x2800, v38
	v_fma_f32 v6, 0xbf788fa5, v7, -v52
	v_add_f32_e32 v5, v118, v5
	v_fma_f32 v37, 0xbf3f9e67, v7, -v103
	v_add_nc_u32_e32 v7, 0x2000, v38
	s_delay_alu instid0(VALU_DEP_4) | instskip(NEXT) | instid1(VALU_DEP_4)
	v_dual_add_f32 v1, v109, v31 :: v_dual_add_f32 v2, v6, v2
	v_dual_add_f32 v5, v119, v5 :: v_dual_add_nc_u32 v6, 0x1800, v38
	ds_store_2addr_b64 v38, v[41:42], v[16:17] offset1:130
	v_add_f32_e32 v5, v43, v5
	v_add_f32_e32 v43, v37, v34
	s_delay_alu instid0(VALU_DEP_2)
	v_add_f32_e32 v3, v120, v5
	v_add_nc_u32_e32 v5, 0x1000, v38
	ds_store_2addr_b64 v4, v[35:36], v[22:23] offset0:4 offset1:134
	ds_store_2addr_b64 v5, v[20:21], v[18:19] offset0:8 offset1:138
	;; [unrolled: 1-line block ×5, first 2 shown]
	ds_store_b64 v38, v[2:3] offset:12480
.LBB0_25:
	s_wait_alu 0xfffe
	s_or_b32 exec_lo, exec_lo, s1
	global_wb scope:SCOPE_SE
	s_wait_dscnt 0x0
	s_barrier_signal -1
	s_barrier_wait -1
	global_inv scope:SCOPE_SE
	s_and_saveexec_b32 s0, vcc_lo
	s_cbranch_execz .LBB0_27
; %bb.26:
	v_mul_lo_u32 v0, s3, v32
	v_mul_lo_u32 v1, s2, v33
	v_mad_co_u64_u32 v[4:5], null, s2, v32, 0
	v_dual_mov_b32 v31, 0 :: v_dual_add_nc_u32 v8, 0xa9, v30
	v_lshl_add_u32 v20, v30, 3, 0
	v_lshlrev_b64_e32 v[6:7], 3, v[28:29]
	s_delay_alu instid0(VALU_DEP_3) | instskip(SKIP_1) | instid1(VALU_DEP_4)
	v_dual_mov_b32 v9, v31 :: v_dual_add_nc_u32 v10, 0x152, v30
	v_add3_u32 v5, v5, v1, v0
	v_dual_mov_b32 v11, v31 :: v_dual_add_nc_u32 v14, 0x800, v20
	ds_load_2addr_b64 v[0:3], v20 offset1:169
	v_lshlrev_b64_e32 v[12:13], 3, v[30:31]
	v_lshlrev_b64_e32 v[4:5], 3, v[4:5]
	;; [unrolled: 1-line block ×4, first 2 shown]
	v_dual_mov_b32 v17, v31 :: v_dual_add_nc_u32 v16, 0x2a4, v30
	v_add_nc_u32_e32 v18, 0x1400, v20
	v_add_co_u32 v4, vcc_lo, s6, v4
	s_wait_alu 0xfffd
	v_add_co_ci_u32_e32 v5, vcc_lo, s7, v5, vcc_lo
	v_lshlrev_b64_e32 v[16:17], 3, v[16:17]
	s_delay_alu instid0(VALU_DEP_3) | instskip(SKIP_1) | instid1(VALU_DEP_3)
	v_add_co_u32 v24, vcc_lo, v4, v6
	s_wait_alu 0xfffd
	v_add_co_ci_u32_e32 v25, vcc_lo, v5, v7, vcc_lo
	ds_load_2addr_b64 v[4:7], v14 offset0:82 offset1:251
	v_dual_mov_b32 v15, v31 :: v_dual_add_nc_u32 v14, 0x1fb, v30
	v_add_co_u32 v12, vcc_lo, v24, v12
	s_wait_alu 0xfffd
	v_add_co_ci_u32_e32 v13, vcc_lo, v25, v13, vcc_lo
	v_add_co_u32 v8, vcc_lo, v24, v8
	v_lshlrev_b64_e32 v[14:15], 3, v[14:15]
	s_wait_alu 0xfffd
	v_add_co_ci_u32_e32 v9, vcc_lo, v25, v9, vcc_lo
	v_add_co_u32 v10, vcc_lo, v24, v10
	s_wait_alu 0xfffd
	v_add_co_ci_u32_e32 v11, vcc_lo, v25, v11, vcc_lo
	v_add_co_u32 v14, vcc_lo, v24, v14
	s_wait_alu 0xfffd
	v_add_co_ci_u32_e32 v15, vcc_lo, v25, v15, vcc_lo
	s_wait_dscnt 0x1
	s_clause 0x1
	global_store_b64 v[12:13], v[0:1], off
	global_store_b64 v[8:9], v[2:3], off
	s_wait_dscnt 0x0
	s_clause 0x1
	global_store_b64 v[10:11], v[4:5], off
	global_store_b64 v[14:15], v[6:7], off
	v_dual_mov_b32 v9, v31 :: v_dual_add_nc_u32 v4, 0x34d, v30
	v_dual_mov_b32 v5, v31 :: v_dual_add_nc_u32 v8, 0x3f6, v30
	v_dual_mov_b32 v11, v31 :: v_dual_add_nc_u32 v10, 0x49f, v30
	v_add_co_u32 v12, vcc_lo, v24, v16
	s_delay_alu instid0(VALU_DEP_3) | instskip(NEXT) | instid1(VALU_DEP_4)
	v_lshlrev_b64_e32 v[4:5], 3, v[4:5]
	v_lshlrev_b64_e32 v[8:9], 3, v[8:9]
	v_dual_mov_b32 v19, v31 :: v_dual_add_nc_u32 v6, 0x1e00, v20
	s_wait_alu 0xfffd
	v_add_co_ci_u32_e32 v13, vcc_lo, v25, v17, vcc_lo
	s_delay_alu instid0(VALU_DEP_4)
	v_add_co_u32 v14, vcc_lo, v24, v4
	v_lshlrev_b64_e32 v[16:17], 3, v[10:11]
	v_add_nc_u32_e32 v10, 0x2800, v20
	ds_load_2addr_b64 v[0:3], v18 offset0:36 offset1:205
	s_wait_alu 0xfffd
	v_add_co_ci_u32_e32 v15, vcc_lo, v25, v5, vcc_lo
	ds_load_2addr_b64 v[4:7], v6 offset0:54 offset1:223
	v_add_co_u32 v20, vcc_lo, v24, v8
	v_add_nc_u32_e32 v18, 0x548, v30
	s_wait_alu 0xfffd
	v_add_co_ci_u32_e32 v21, vcc_lo, v25, v9, vcc_lo
	ds_load_2addr_b64 v[8:11], v10 offset0:72 offset1:241
	v_add_nc_u32_e32 v30, 0x5f1, v30
	v_lshlrev_b64_e32 v[18:19], 3, v[18:19]
	v_add_co_u32 v16, vcc_lo, v24, v16
	s_wait_alu 0xfffd
	v_add_co_ci_u32_e32 v17, vcc_lo, v25, v17, vcc_lo
	v_lshlrev_b64_e32 v[22:23], 3, v[30:31]
	s_delay_alu instid0(VALU_DEP_4) | instskip(SKIP_2) | instid1(VALU_DEP_3)
	v_add_co_u32 v18, vcc_lo, v24, v18
	s_wait_alu 0xfffd
	v_add_co_ci_u32_e32 v19, vcc_lo, v25, v19, vcc_lo
	v_add_co_u32 v22, vcc_lo, v24, v22
	s_wait_alu 0xfffd
	v_add_co_ci_u32_e32 v23, vcc_lo, v25, v23, vcc_lo
	s_wait_dscnt 0x2
	s_clause 0x1
	global_store_b64 v[12:13], v[0:1], off
	global_store_b64 v[14:15], v[2:3], off
	s_wait_dscnt 0x1
	s_clause 0x1
	global_store_b64 v[20:21], v[4:5], off
	global_store_b64 v[16:17], v[6:7], off
	;; [unrolled: 4-line block ×3, first 2 shown]
.LBB0_27:
	s_nop 0
	s_sendmsg sendmsg(MSG_DEALLOC_VGPRS)
	s_endpgm
	.section	.rodata,"a",@progbits
	.p2align	6, 0x0
	.amdhsa_kernel fft_rtc_back_len1690_factors_13_10_13_wgs_169_tpt_169_sp_op_CI_CI_unitstride_sbrr_C2R_dirReg
		.amdhsa_group_segment_fixed_size 0
		.amdhsa_private_segment_fixed_size 0
		.amdhsa_kernarg_size 104
		.amdhsa_user_sgpr_count 2
		.amdhsa_user_sgpr_dispatch_ptr 0
		.amdhsa_user_sgpr_queue_ptr 0
		.amdhsa_user_sgpr_kernarg_segment_ptr 1
		.amdhsa_user_sgpr_dispatch_id 0
		.amdhsa_user_sgpr_private_segment_size 0
		.amdhsa_wavefront_size32 1
		.amdhsa_uses_dynamic_stack 0
		.amdhsa_enable_private_segment 0
		.amdhsa_system_sgpr_workgroup_id_x 1
		.amdhsa_system_sgpr_workgroup_id_y 0
		.amdhsa_system_sgpr_workgroup_id_z 0
		.amdhsa_system_sgpr_workgroup_info 0
		.amdhsa_system_vgpr_workitem_id 0
		.amdhsa_next_free_vgpr 142
		.amdhsa_next_free_sgpr 39
		.amdhsa_reserve_vcc 1
		.amdhsa_float_round_mode_32 0
		.amdhsa_float_round_mode_16_64 0
		.amdhsa_float_denorm_mode_32 3
		.amdhsa_float_denorm_mode_16_64 3
		.amdhsa_fp16_overflow 0
		.amdhsa_workgroup_processor_mode 1
		.amdhsa_memory_ordered 1
		.amdhsa_forward_progress 0
		.amdhsa_round_robin_scheduling 0
		.amdhsa_exception_fp_ieee_invalid_op 0
		.amdhsa_exception_fp_denorm_src 0
		.amdhsa_exception_fp_ieee_div_zero 0
		.amdhsa_exception_fp_ieee_overflow 0
		.amdhsa_exception_fp_ieee_underflow 0
		.amdhsa_exception_fp_ieee_inexact 0
		.amdhsa_exception_int_div_zero 0
	.end_amdhsa_kernel
	.text
.Lfunc_end0:
	.size	fft_rtc_back_len1690_factors_13_10_13_wgs_169_tpt_169_sp_op_CI_CI_unitstride_sbrr_C2R_dirReg, .Lfunc_end0-fft_rtc_back_len1690_factors_13_10_13_wgs_169_tpt_169_sp_op_CI_CI_unitstride_sbrr_C2R_dirReg
                                        ; -- End function
	.section	.AMDGPU.csdata,"",@progbits
; Kernel info:
; codeLenInByte = 11388
; NumSgprs: 41
; NumVgprs: 142
; ScratchSize: 0
; MemoryBound: 0
; FloatMode: 240
; IeeeMode: 1
; LDSByteSize: 0 bytes/workgroup (compile time only)
; SGPRBlocks: 5
; VGPRBlocks: 17
; NumSGPRsForWavesPerEU: 41
; NumVGPRsForWavesPerEU: 142
; Occupancy: 10
; WaveLimiterHint : 1
; COMPUTE_PGM_RSRC2:SCRATCH_EN: 0
; COMPUTE_PGM_RSRC2:USER_SGPR: 2
; COMPUTE_PGM_RSRC2:TRAP_HANDLER: 0
; COMPUTE_PGM_RSRC2:TGID_X_EN: 1
; COMPUTE_PGM_RSRC2:TGID_Y_EN: 0
; COMPUTE_PGM_RSRC2:TGID_Z_EN: 0
; COMPUTE_PGM_RSRC2:TIDIG_COMP_CNT: 0
	.text
	.p2alignl 7, 3214868480
	.fill 96, 4, 3214868480
	.type	__hip_cuid_bbb8e22e9fd6bef7,@object ; @__hip_cuid_bbb8e22e9fd6bef7
	.section	.bss,"aw",@nobits
	.globl	__hip_cuid_bbb8e22e9fd6bef7
__hip_cuid_bbb8e22e9fd6bef7:
	.byte	0                               ; 0x0
	.size	__hip_cuid_bbb8e22e9fd6bef7, 1

	.ident	"AMD clang version 19.0.0git (https://github.com/RadeonOpenCompute/llvm-project roc-6.4.0 25133 c7fe45cf4b819c5991fe208aaa96edf142730f1d)"
	.section	".note.GNU-stack","",@progbits
	.addrsig
	.addrsig_sym __hip_cuid_bbb8e22e9fd6bef7
	.amdgpu_metadata
---
amdhsa.kernels:
  - .args:
      - .actual_access:  read_only
        .address_space:  global
        .offset:         0
        .size:           8
        .value_kind:     global_buffer
      - .offset:         8
        .size:           8
        .value_kind:     by_value
      - .actual_access:  read_only
        .address_space:  global
        .offset:         16
        .size:           8
        .value_kind:     global_buffer
      - .actual_access:  read_only
        .address_space:  global
        .offset:         24
        .size:           8
        .value_kind:     global_buffer
      - .actual_access:  read_only
        .address_space:  global
        .offset:         32
        .size:           8
        .value_kind:     global_buffer
      - .offset:         40
        .size:           8
        .value_kind:     by_value
      - .actual_access:  read_only
        .address_space:  global
        .offset:         48
        .size:           8
        .value_kind:     global_buffer
      - .actual_access:  read_only
        .address_space:  global
        .offset:         56
        .size:           8
        .value_kind:     global_buffer
      - .offset:         64
        .size:           4
        .value_kind:     by_value
      - .actual_access:  read_only
        .address_space:  global
        .offset:         72
        .size:           8
        .value_kind:     global_buffer
      - .actual_access:  read_only
        .address_space:  global
        .offset:         80
        .size:           8
        .value_kind:     global_buffer
      - .actual_access:  read_only
        .address_space:  global
        .offset:         88
        .size:           8
        .value_kind:     global_buffer
      - .actual_access:  write_only
        .address_space:  global
        .offset:         96
        .size:           8
        .value_kind:     global_buffer
    .group_segment_fixed_size: 0
    .kernarg_segment_align: 8
    .kernarg_segment_size: 104
    .language:       OpenCL C
    .language_version:
      - 2
      - 0
    .max_flat_workgroup_size: 169
    .name:           fft_rtc_back_len1690_factors_13_10_13_wgs_169_tpt_169_sp_op_CI_CI_unitstride_sbrr_C2R_dirReg
    .private_segment_fixed_size: 0
    .sgpr_count:     41
    .sgpr_spill_count: 0
    .symbol:         fft_rtc_back_len1690_factors_13_10_13_wgs_169_tpt_169_sp_op_CI_CI_unitstride_sbrr_C2R_dirReg.kd
    .uniform_work_group_size: 1
    .uses_dynamic_stack: false
    .vgpr_count:     142
    .vgpr_spill_count: 0
    .wavefront_size: 32
    .workgroup_processor_mode: 1
amdhsa.target:   amdgcn-amd-amdhsa--gfx1201
amdhsa.version:
  - 1
  - 2
...

	.end_amdgpu_metadata
